;; amdgpu-corpus repo=ROCm/rocFFT kind=compiled arch=gfx906 opt=O3
	.text
	.amdgcn_target "amdgcn-amd-amdhsa--gfx906"
	.amdhsa_code_object_version 6
	.protected	bluestein_single_fwd_len2500_dim1_dp_op_CI_CI ; -- Begin function bluestein_single_fwd_len2500_dim1_dp_op_CI_CI
	.globl	bluestein_single_fwd_len2500_dim1_dp_op_CI_CI
	.p2align	8
	.type	bluestein_single_fwd_len2500_dim1_dp_op_CI_CI,@function
bluestein_single_fwd_len2500_dim1_dp_op_CI_CI: ; @bluestein_single_fwd_len2500_dim1_dp_op_CI_CI
; %bb.0:
	s_load_dwordx4 s[16:19], s[4:5], 0x28
	v_mul_u32_u24_e32 v1, 0x107, v0
	v_add_u32_sdwa v140, s6, v1 dst_sel:DWORD dst_unused:UNUSED_PAD src0_sel:DWORD src1_sel:WORD_1
	v_mov_b32_e32 v141, 0
	s_waitcnt lgkmcnt(0)
	v_cmp_gt_u64_e32 vcc, s[16:17], v[140:141]
	s_and_saveexec_b64 s[0:1], vcc
	s_cbranch_execz .LBB0_2
; %bb.1:
	s_load_dwordx4 s[0:3], s[4:5], 0x18
	s_load_dwordx4 s[8:11], s[4:5], 0x0
	s_movk_i32 s25, 0xfa
	v_mul_lo_u16_sdwa v1, v1, s25 dst_sel:DWORD dst_unused:UNUSED_PAD src0_sel:WORD_1 src1_sel:DWORD
	v_sub_u16_e32 v142, v0, v1
	s_waitcnt lgkmcnt(0)
	s_load_dwordx4 s[12:15], s[0:1], 0x0
	v_lshlrev_b32_e32 v141, 4, v142
	s_movk_i32 s24, 0x1000
	s_movk_i32 s6, 0x2000
	s_mov_b32 s17, 0xbfee6f0e
	s_waitcnt lgkmcnt(0)
	v_mad_u64_u32 v[0:1], s[0:1], s14, v140, 0
	v_mad_u64_u32 v[2:3], s[0:1], s12, v142, 0
	s_mov_b32 s21, 0xbfd3c6ef
	s_mov_b32 s23, 0xbfe9e377
	v_mad_u64_u32 v[4:5], s[0:1], s15, v140, v[1:2]
	s_mov_b32 s15, 0xbfe2cf23
	s_movk_i32 s26, 0xcd
	v_mad_u64_u32 v[5:6], s[0:1], s13, v142, v[3:4]
	v_mov_b32_e32 v1, v4
	v_lshlrev_b64 v[0:1], 4, v[0:1]
	v_mov_b32_e32 v6, s19
	v_mov_b32_e32 v3, v5
	v_add_co_u32_e32 v4, vcc, s18, v0
	v_addc_co_u32_e32 v5, vcc, v6, v1, vcc
	v_lshlrev_b64 v[0:1], 4, v[2:3]
	v_mov_b32_e32 v2, s9
	v_add_co_u32_e32 v0, vcc, v4, v0
	v_addc_co_u32_e32 v1, vcc, v5, v1, vcc
	v_add_co_u32_e32 v143, vcc, s8, v141
	s_mul_i32 s0, s13, 0xfa0
	s_mul_hi_u32 s1, s12, 0xfa0
	v_addc_co_u32_e32 v144, vcc, 0, v2, vcc
	s_add_i32 s0, s1, s0
	s_mul_i32 s1, s12, 0xfa0
	v_mov_b32_e32 v2, s0
	v_add_co_u32_e32 v8, vcc, s1, v0
	v_addc_co_u32_e32 v9, vcc, v1, v2, vcc
	v_mov_b32_e32 v10, s0
	v_add_co_u32_e32 v12, vcc, s1, v8
	v_addc_co_u32_e32 v13, vcc, v9, v10, vcc
	global_load_dwordx4 v[40:43], v[0:1], off
	global_load_dwordx4 v[4:7], v141, s[8:9]
	s_nop 0
	global_load_dwordx4 v[0:3], v141, s[8:9] offset:4000
	global_load_dwordx4 v[44:47], v[8:9], off
	global_load_dwordx4 v[48:51], v[12:13], off
	v_add_co_u32_e32 v8, vcc, s24, v143
	v_addc_co_u32_e32 v9, vcc, 0, v144, vcc
	v_mov_b32_e32 v14, s0
	v_add_co_u32_e32 v16, vcc, s1, v12
	v_addc_co_u32_e32 v17, vcc, v13, v14, vcc
	v_add_co_u32_e32 v12, vcc, s6, v143
	v_addc_co_u32_e32 v13, vcc, 0, v144, vcc
	v_mov_b32_e32 v18, s0
	v_add_co_u32_e32 v20, vcc, s1, v16
	v_addc_co_u32_e32 v21, vcc, v17, v18, vcc
	s_movk_i32 s6, 0x3000
	global_load_dwordx4 v[52:55], v[16:17], off
	global_load_dwordx4 v[56:59], v[20:21], off
	v_add_co_u32_e32 v16, vcc, s6, v143
	v_addc_co_u32_e32 v17, vcc, 0, v144, vcc
	v_mov_b32_e32 v22, s0
	v_add_co_u32_e32 v24, vcc, s1, v20
	v_addc_co_u32_e32 v25, vcc, v21, v22, vcc
	s_movk_i32 s6, 0x4000
	v_add_co_u32_e32 v20, vcc, s6, v143
	v_addc_co_u32_e32 v21, vcc, 0, v144, vcc
	v_mov_b32_e32 v26, s0
	v_add_co_u32_e32 v28, vcc, s1, v24
	v_addc_co_u32_e32 v29, vcc, v25, v26, vcc
	s_movk_i32 s6, 0x5000
	global_load_dwordx4 v[60:63], v[24:25], off
	v_add_co_u32_e32 v24, vcc, s6, v143
	v_addc_co_u32_e32 v25, vcc, 0, v144, vcc
	v_mov_b32_e32 v30, s0
	v_add_co_u32_e32 v32, vcc, s1, v28
	global_load_dwordx4 v[8:11], v[8:9], off offset:3904
	v_addc_co_u32_e32 v33, vcc, v29, v30, vcc
	global_load_dwordx4 v[12:15], v[12:13], off offset:3808
	s_movk_i32 s6, 0x6000
	global_load_dwordx4 v[16:19], v[16:17], off offset:3712
	v_mov_b32_e32 v34, s0
	global_load_dwordx4 v[20:23], v[20:21], off offset:3616
	v_mov_b32_e32 v38, s0
	global_load_dwordx4 v[64:67], v[28:29], off
	v_add_co_u32_e32 v28, vcc, s6, v143
	v_addc_co_u32_e32 v29, vcc, 0, v144, vcc
	v_add_co_u32_e32 v36, vcc, s1, v32
	v_addc_co_u32_e32 v37, vcc, v33, v34, vcc
	s_movk_i32 s6, 0x7000
	global_load_dwordx4 v[68:71], v[32:33], off
	v_add_co_u32_e32 v32, vcc, s6, v143
	v_addc_co_u32_e32 v33, vcc, 0, v144, vcc
	global_load_dwordx4 v[72:75], v[36:37], off
	v_add_co_u32_e32 v36, vcc, s1, v36
	global_load_dwordx4 v[24:27], v[24:25], off offset:3520
	v_addc_co_u32_e32 v37, vcc, v37, v38, vcc
	s_mov_b32 s0, 0x8000
	global_load_dwordx4 v[28:31], v[28:29], off offset:3424
	s_waitcnt vmcnt(15)
	v_mul_f64 v[80:81], v[42:43], v[6:7]
	global_load_dwordx4 v[76:79], v[36:37], off
	v_add_co_u32_e32 v36, vcc, s0, v143
	global_load_dwordx4 v[32:35], v[32:33], off offset:3328
	v_addc_co_u32_e32 v37, vcc, 0, v144, vcc
	global_load_dwordx4 v[36:39], v[36:37], off offset:3232
	v_mul_f64 v[82:83], v[40:41], v[6:7]
	s_waitcnt vmcnt(16)
	v_mul_f64 v[84:85], v[46:47], v[2:3]
	v_mul_f64 v[86:87], v[44:45], v[2:3]
	v_fma_f64 v[40:41], v[40:41], v[4:5], v[80:81]
	s_load_dwordx4 s[0:3], s[2:3], 0x0
	s_mov_b32 s6, 0x134454ff
	s_mov_b32 s7, 0x3fee6f0e
	;; [unrolled: 1-line block ×3, first 2 shown]
	v_fma_f64 v[42:43], v[42:43], v[4:5], -v[82:83]
	v_fma_f64 v[44:45], v[44:45], v[0:1], v[84:85]
	v_fma_f64 v[46:47], v[46:47], v[0:1], -v[86:87]
	ds_write_b128 v141, v[40:43]
	ds_write_b128 v141, v[44:47] offset:4000
	s_mov_b32 s12, 0x4755a5e
	s_mov_b32 s13, 0x3fe2cf23
	;; [unrolled: 1-line block ×9, first 2 shown]
	v_add_co_u32_e32 v124, vcc, s25, v142
	s_mov_b32 s25, 0xcccd
	s_load_dwordx2 s[4:5], s[4:5], 0x38
	s_waitcnt vmcnt(11)
	v_mul_f64 v[40:41], v[50:51], v[10:11]
	v_mul_f64 v[42:43], v[48:49], v[10:11]
	s_waitcnt vmcnt(10)
	v_mul_f64 v[44:45], v[54:55], v[14:15]
	v_mul_f64 v[46:47], v[52:53], v[14:15]
	;; [unrolled: 3-line block ×4, first 2 shown]
	v_fma_f64 v[40:41], v[48:49], v[8:9], v[40:41]
	v_fma_f64 v[42:43], v[50:51], v[8:9], -v[42:43]
	v_fma_f64 v[44:45], v[52:53], v[12:13], v[44:45]
	v_fma_f64 v[46:47], v[54:55], v[12:13], -v[46:47]
	v_fma_f64 v[48:49], v[56:57], v[16:17], v[80:81]
	v_fma_f64 v[50:51], v[58:59], v[16:17], -v[82:83]
	v_fma_f64 v[52:53], v[60:61], v[20:21], v[84:85]
	v_fma_f64 v[54:55], v[62:63], v[20:21], -v[86:87]
	s_waitcnt vmcnt(4)
	v_mul_f64 v[56:57], v[66:67], v[26:27]
	v_mul_f64 v[58:59], v[64:65], v[26:27]
	s_waitcnt vmcnt(3)
	v_mul_f64 v[60:61], v[70:71], v[30:31]
	v_mul_f64 v[62:63], v[68:69], v[30:31]
	v_fma_f64 v[56:57], v[64:65], v[24:25], v[56:57]
	s_waitcnt vmcnt(1)
	v_mul_f64 v[80:81], v[74:75], v[34:35]
	v_mul_f64 v[82:83], v[72:73], v[34:35]
	v_fma_f64 v[58:59], v[66:67], v[24:25], -v[58:59]
	s_waitcnt vmcnt(0)
	v_mul_f64 v[84:85], v[78:79], v[38:39]
	v_mul_f64 v[86:87], v[76:77], v[38:39]
	v_fma_f64 v[60:61], v[68:69], v[28:29], v[60:61]
	v_fma_f64 v[62:63], v[70:71], v[28:29], -v[62:63]
	v_fma_f64 v[64:65], v[72:73], v[32:33], v[80:81]
	v_fma_f64 v[66:67], v[74:75], v[32:33], -v[82:83]
	;; [unrolled: 2-line block ×3, first 2 shown]
	ds_write_b128 v141, v[40:43] offset:8000
	ds_write_b128 v141, v[44:47] offset:12000
	;; [unrolled: 1-line block ×8, first 2 shown]
	s_waitcnt lgkmcnt(0)
	s_barrier
	ds_read_b128 v[40:43], v141
	ds_read_b128 v[44:47], v141 offset:8000
	ds_read_b128 v[48:51], v141 offset:16000
	;; [unrolled: 1-line block ×5, first 2 shown]
	s_waitcnt lgkmcnt(4)
	v_add_f64 v[64:65], v[40:41], v[44:45]
	s_waitcnt lgkmcnt(3)
	v_add_f64 v[90:91], v[44:45], -v[48:49]
	s_waitcnt lgkmcnt(2)
	v_add_f64 v[66:67], v[48:49], v[52:53]
	v_add_f64 v[88:89], v[50:51], -v[54:55]
	s_waitcnt lgkmcnt(0)
	v_add_f64 v[82:83], v[46:47], -v[62:63]
	v_add_f64 v[92:93], v[60:61], -v[52:53]
	v_add_f64 v[94:95], v[44:45], v[60:61]
	v_add_f64 v[98:99], v[48:49], -v[44:45]
	v_add_f64 v[72:73], v[64:65], v[48:49]
	v_add_f64 v[100:101], v[52:53], -v[60:61]
	v_fma_f64 v[80:81], v[66:67], -0.5, v[40:41]
	v_add_f64 v[44:45], v[44:45], -v[60:61]
	v_add_f64 v[48:49], v[48:49], -v[52:53]
	v_add_f64 v[90:91], v[90:91], v[92:93]
	v_fma_f64 v[40:41], v[94:95], -0.5, v[40:41]
	v_add_f64 v[92:93], v[42:43], v[46:47]
	v_add_f64 v[84:85], v[72:73], v[52:53]
	v_add_f64 v[94:95], v[50:51], v[54:55]
	v_fma_f64 v[86:87], v[82:83], s[6:7], v[80:81]
	v_fma_f64 v[80:81], v[82:83], s[16:17], v[80:81]
	ds_read_b128 v[64:67], v141 offset:4000
	ds_read_b128 v[68:71], v141 offset:12000
	;; [unrolled: 1-line block ×4, first 2 shown]
	v_fma_f64 v[96:97], v[88:89], s[16:17], v[40:41]
	v_fma_f64 v[40:41], v[88:89], s[6:7], v[40:41]
	v_add_f64 v[84:85], v[84:85], v[60:61]
	s_waitcnt lgkmcnt(0)
	v_fma_f64 v[86:87], v[88:89], s[12:13], v[86:87]
	v_fma_f64 v[80:81], v[88:89], s[14:15], v[80:81]
	v_add_f64 v[88:89], v[92:93], v[50:51]
	v_fma_f64 v[92:93], v[94:95], -0.5, v[42:43]
	v_fma_f64 v[60:61], v[82:83], s[12:13], v[96:97]
	v_add_f64 v[94:95], v[98:99], v[100:101]
	v_fma_f64 v[40:41], v[82:83], s[14:15], v[40:41]
	v_add_f64 v[98:99], v[62:63], -v[54:55]
	v_fma_f64 v[86:87], v[90:91], s[8:9], v[86:87]
	v_fma_f64 v[80:81], v[90:91], s[8:9], v[80:81]
	v_add_f64 v[82:83], v[88:89], v[54:55]
	v_add_f64 v[88:89], v[46:47], v[62:63]
	v_fma_f64 v[90:91], v[44:45], s[16:17], v[92:93]
	v_fma_f64 v[96:97], v[94:95], s[8:9], v[60:61]
	v_add_f64 v[60:61], v[46:47], -v[50:51]
	v_fma_f64 v[94:95], v[94:95], s[8:9], v[40:41]
	v_add_f64 v[52:53], v[72:73], v[76:77]
	v_fma_f64 v[92:93], v[44:45], s[6:7], v[92:93]
	v_add_f64 v[46:47], v[50:51], -v[46:47]
	v_fma_f64 v[40:41], v[88:89], -0.5, v[42:43]
	v_add_f64 v[88:89], v[64:65], v[68:69]
	v_add_f64 v[50:51], v[54:55], -v[62:63]
	v_add_f64 v[60:61], v[60:61], v[98:99]
	v_fma_f64 v[42:43], v[48:49], s[14:15], v[90:91]
	v_fma_f64 v[52:53], v[52:53], -0.5, v[64:65]
	v_add_f64 v[90:91], v[70:71], -v[58:59]
	v_add_f64 v[100:101], v[68:69], -v[72:73]
	v_fma_f64 v[98:99], v[48:49], s[6:7], v[40:41]
	v_fma_f64 v[40:41], v[48:49], s[16:17], v[40:41]
	v_add_f64 v[54:55], v[88:89], v[72:73]
	v_add_f64 v[102:103], v[56:57], -v[76:77]
	v_fma_f64 v[48:49], v[48:49], s[12:13], v[92:93]
	v_add_f64 v[46:47], v[46:47], v[50:51]
	v_add_f64 v[82:83], v[82:83], v[62:63]
	v_fma_f64 v[62:63], v[90:91], s[6:7], v[52:53]
	v_fma_f64 v[92:93], v[44:45], s[14:15], v[98:99]
	v_add_f64 v[98:99], v[68:69], v[56:57]
	v_fma_f64 v[40:41], v[44:45], s[12:13], v[40:41]
	v_add_f64 v[88:89], v[74:75], -v[78:79]
	v_add_f64 v[44:45], v[54:55], v[76:77]
	v_add_f64 v[54:55], v[100:101], v[102:103]
	v_fma_f64 v[100:101], v[60:61], s[8:9], v[42:43]
	v_fma_f64 v[102:103], v[60:61], s[8:9], v[48:49]
	v_add_f64 v[48:49], v[70:71], v[58:59]
	v_fma_f64 v[42:43], v[98:99], -0.5, v[64:65]
	v_fma_f64 v[98:99], v[46:47], s[8:9], v[40:41]
	v_add_f64 v[40:41], v[74:75], v[78:79]
	v_fma_f64 v[50:51], v[88:89], s[12:13], v[62:63]
	v_fma_f64 v[92:93], v[46:47], s[8:9], v[92:93]
	v_add_f64 v[60:61], v[44:45], v[56:57]
	v_fma_f64 v[46:47], v[90:91], s[16:17], v[52:53]
	v_add_f64 v[52:53], v[72:73], -v[68:69]
	v_add_f64 v[62:63], v[76:77], -v[56:57]
	v_add_f64 v[64:65], v[66:67], v[70:71]
	v_fma_f64 v[40:41], v[40:41], -0.5, v[66:67]
	v_add_f64 v[56:57], v[68:69], -v[56:57]
	v_add_f64 v[68:69], v[72:73], -v[76:77]
	v_fma_f64 v[48:49], v[48:49], -0.5, v[66:67]
	v_add_f64 v[66:67], v[70:71], -v[74:75]
	v_add_f64 v[76:77], v[58:59], -v[78:79]
	v_add_f64 v[52:53], v[52:53], v[62:63]
	v_add_f64 v[62:63], v[64:65], v[74:75]
	v_fma_f64 v[44:45], v[54:55], s[8:9], v[50:51]
	v_fma_f64 v[64:65], v[56:57], s[16:17], v[40:41]
	;; [unrolled: 1-line block ×5, first 2 shown]
	v_add_f64 v[70:71], v[74:75], -v[70:71]
	v_add_f64 v[74:75], v[78:79], -v[58:59]
	v_fma_f64 v[48:49], v[68:69], s[16:17], v[48:49]
	v_fma_f64 v[40:41], v[56:57], s[6:7], v[40:41]
	;; [unrolled: 1-line block ×3, first 2 shown]
	v_add_f64 v[62:63], v[62:63], v[78:79]
	v_fma_f64 v[64:65], v[68:69], s[14:15], v[64:65]
	v_add_f64 v[66:67], v[66:67], v[76:77]
	v_fma_f64 v[50:51], v[90:91], s[12:13], v[50:51]
	v_fma_f64 v[42:43], v[90:91], s[14:15], v[42:43]
	;; [unrolled: 1-line block ×3, first 2 shown]
	v_add_f64 v[70:71], v[70:71], v[74:75]
	v_fma_f64 v[48:49], v[56:57], s[12:13], v[48:49]
	v_fma_f64 v[40:41], v[68:69], s[12:13], v[40:41]
	;; [unrolled: 1-line block ×3, first 2 shown]
	v_add_f64 v[62:63], v[62:63], v[58:59]
	v_fma_f64 v[54:55], v[66:67], s[8:9], v[64:65]
	v_mul_f64 v[58:59], v[44:45], s[18:19]
	v_fma_f64 v[50:51], v[52:53], s[8:9], v[50:51]
	v_fma_f64 v[42:43], v[52:53], s[8:9], v[42:43]
	;; [unrolled: 1-line block ×5, first 2 shown]
	v_mul_f64 v[68:69], v[46:47], s[22:23]
	v_add_f64 v[40:41], v[84:85], v[60:61]
	v_fma_f64 v[70:71], v[54:55], s[12:13], v[58:59]
	v_mul_f64 v[58:59], v[44:45], s[14:15]
	v_mul_f64 v[72:73], v[50:51], s[16:17]
	;; [unrolled: 1-line block ×6, first 2 shown]
	v_fma_f64 v[88:89], v[56:57], s[12:13], v[68:69]
	v_add_f64 v[44:45], v[86:87], v[70:71]
	v_fma_f64 v[90:91], v[54:55], s[18:19], v[58:59]
	v_fma_f64 v[104:105], v[52:53], s[8:9], v[72:73]
	v_fma_f64 v[78:79], v[50:51], s[8:9], v[64:65]
	v_fma_f64 v[66:67], v[48:49], s[6:7], v[66:67]
	v_fma_f64 v[74:75], v[42:43], s[16:17], v[74:75]
	v_fma_f64 v[106:107], v[46:47], s[14:15], v[76:77]
	v_add_f64 v[42:43], v[82:83], v[62:63]
	v_add_f64 v[56:57], v[80:81], v[88:89]
	;; [unrolled: 1-line block ×8, first 2 shown]
	v_add_f64 v[60:61], v[84:85], -v[60:61]
	v_add_f64 v[62:63], v[82:83], -v[62:63]
	;; [unrolled: 1-line block ×6, first 2 shown]
	v_mul_lo_u16_e32 v80, 10, v142
	v_add_f64 v[68:69], v[96:97], -v[78:79]
	v_add_f64 v[70:71], v[92:93], -v[104:105]
	v_lshlrev_b32_e32 v145, 4, v80
	v_add_f64 v[74:75], v[98:99], -v[74:75]
	v_add_f64 v[78:79], v[102:103], -v[106:107]
	s_barrier
	ds_write_b128 v145, v[40:43]
	ds_write_b128 v145, v[44:47] offset:16
	ds_write_b128 v145, v[48:51] offset:32
	ds_write_b128 v145, v[52:55] offset:48
	ds_write_b128 v145, v[56:59] offset:64
	ds_write_b128 v145, v[60:63] offset:80
	ds_write_b128 v145, v[64:67] offset:96
	ds_write_b128 v145, v[68:71] offset:112
	ds_write_b128 v145, v[72:75] offset:128
	ds_write_b128 v145, v[76:79] offset:144
	v_mul_lo_u16_sdwa v40, v142, s26 dst_sel:DWORD dst_unused:UNUSED_PAD src0_sel:BYTE_0 src1_sel:DWORD
	v_lshrrev_b16_e32 v139, 11, v40
	v_mul_lo_u16_e32 v40, 10, v139
	v_sub_u16_e32 v40, v142, v40
	v_and_b32_e32 v146, 0xff, v40
	v_lshlrev_b32_e32 v52, 6, v146
	s_waitcnt lgkmcnt(0)
	s_barrier
	global_load_dwordx4 v[56:59], v52, s[10:11]
	global_load_dwordx4 v[48:51], v52, s[10:11] offset:16
	global_load_dwordx4 v[40:43], v52, s[10:11] offset:48
	;; [unrolled: 1-line block ×3, first 2 shown]
	v_mul_u32_u24_sdwa v52, v124, s25 dst_sel:DWORD dst_unused:UNUSED_PAD src0_sel:WORD_0 src1_sel:DWORD
	v_lshrrev_b32_e32 v147, 19, v52
	v_mul_lo_u16_e32 v52, 10, v147
	v_sub_u16_e32 v148, v124, v52
	v_lshlrev_b16_e32 v52, 2, v148
	v_lshlrev_b32_e32 v72, 4, v52
	global_load_dwordx4 v[68:71], v72, s[10:11]
	global_load_dwordx4 v[64:67], v72, s[10:11] offset:16
	global_load_dwordx4 v[60:63], v72, s[10:11] offset:32
	;; [unrolled: 1-line block ×3, first 2 shown]
	ds_read_b128 v[72:75], v141 offset:8000
	ds_read_b128 v[76:79], v141 offset:4000
	;; [unrolled: 1-line block ×8, first 2 shown]
	ds_read_b128 v[104:107], v141
	ds_read_b128 v[108:111], v141 offset:36000
	s_waitcnt vmcnt(0) lgkmcnt(0)
	s_barrier
	s_movk_i32 s25, 0x90
	v_lshlrev_b32_e32 v124, 6, v124
	v_mul_f64 v[112:113], v[74:75], v[58:59]
	v_mul_f64 v[114:115], v[72:73], v[58:59]
	;; [unrolled: 1-line block ×5, first 2 shown]
	v_fma_f64 v[112:113], v[72:73], v[56:57], -v[112:113]
	v_mul_f64 v[72:73], v[88:89], v[46:47]
	v_fma_f64 v[114:115], v[74:75], v[56:57], v[114:115]
	v_fma_f64 v[74:75], v[80:81], v[48:49], -v[116:117]
	v_mul_f64 v[80:81], v[98:99], v[42:43]
	v_fma_f64 v[82:83], v[82:83], v[48:49], v[118:119]
	v_mul_f64 v[116:117], v[96:97], v[42:43]
	v_fma_f64 v[88:89], v[88:89], v[44:45], -v[120:121]
	v_mul_f64 v[118:119], v[86:87], v[70:71]
	v_fma_f64 v[90:91], v[90:91], v[44:45], v[72:73]
	v_mul_f64 v[72:73], v[84:85], v[70:71]
	v_mul_f64 v[120:121], v[94:95], v[66:67]
	v_fma_f64 v[80:81], v[96:97], v[40:41], -v[80:81]
	v_add_f64 v[96:97], v[104:105], v[112:113]
	v_fma_f64 v[98:99], v[98:99], v[40:41], v[116:117]
	v_add_f64 v[116:117], v[74:75], v[88:89]
	v_fma_f64 v[118:119], v[84:85], v[68:69], -v[118:119]
	v_mul_f64 v[84:85], v[92:93], v[66:67]
	v_fma_f64 v[122:123], v[86:87], v[68:69], v[72:73]
	v_fma_f64 v[120:121], v[92:93], v[64:65], -v[120:121]
	v_mul_f64 v[72:73], v[102:103], v[62:63]
	v_add_f64 v[86:87], v[96:97], v[74:75]
	v_mul_f64 v[92:93], v[100:101], v[62:63]
	v_fma_f64 v[96:97], v[116:117], -0.5, v[104:105]
	v_add_f64 v[116:117], v[114:115], -v[98:99]
	v_fma_f64 v[125:126], v[94:95], v[64:65], v[84:85]
	v_mul_f64 v[84:85], v[110:111], v[54:55]
	v_mul_f64 v[94:95], v[108:109], v[54:55]
	v_add_f64 v[127:128], v[112:113], v[80:81]
	v_add_f64 v[86:87], v[86:87], v[88:89]
	v_fma_f64 v[100:101], v[100:101], v[60:61], -v[72:73]
	v_fma_f64 v[102:103], v[102:103], v[60:61], v[92:93]
	v_fma_f64 v[92:93], v[116:117], s[6:7], v[96:97]
	v_add_f64 v[129:130], v[82:83], -v[90:91]
	v_fma_f64 v[108:109], v[108:109], v[52:53], -v[84:85]
	v_fma_f64 v[110:111], v[110:111], v[52:53], v[94:95]
	v_fma_f64 v[84:85], v[127:128], -0.5, v[104:105]
	v_add_f64 v[72:73], v[86:87], v[80:81]
	v_add_f64 v[86:87], v[112:113], -v[74:75]
	v_add_f64 v[94:95], v[80:81], -v[88:89]
	v_fma_f64 v[96:97], v[116:117], s[16:17], v[96:97]
	v_fma_f64 v[92:93], v[129:130], s[12:13], v[92:93]
	v_add_f64 v[104:105], v[106:107], v[114:115]
	v_add_f64 v[127:128], v[82:83], v[90:91]
	v_fma_f64 v[131:132], v[129:130], s[16:17], v[84:85]
	v_add_f64 v[133:134], v[74:75], -v[112:113]
	v_add_f64 v[135:136], v[88:89], -v[80:81]
	v_add_f64 v[86:87], v[86:87], v[94:95]
	v_fma_f64 v[94:95], v[129:130], s[14:15], v[96:97]
	v_fma_f64 v[96:97], v[129:130], s[6:7], v[84:85]
	v_add_f64 v[104:105], v[104:105], v[82:83]
	v_fma_f64 v[127:128], v[127:128], -0.5, v[106:107]
	v_add_f64 v[112:113], v[112:113], -v[80:81]
	v_fma_f64 v[129:130], v[116:117], s[12:13], v[131:132]
	v_add_f64 v[131:132], v[133:134], v[135:136]
	v_fma_f64 v[80:81], v[86:87], s[8:9], v[92:93]
	v_fma_f64 v[84:85], v[86:87], s[8:9], v[94:95]
	;; [unrolled: 1-line block ×3, first 2 shown]
	v_add_f64 v[96:97], v[114:115], v[98:99]
	v_add_f64 v[94:95], v[104:105], v[90:91]
	v_fma_f64 v[104:105], v[112:113], s[16:17], v[127:128]
	v_add_f64 v[116:117], v[74:75], -v[88:89]
	v_fma_f64 v[88:89], v[131:132], s[8:9], v[129:130]
	v_add_f64 v[129:130], v[120:121], v[100:101]
	v_add_f64 v[133:134], v[114:115], -v[82:83]
	v_fma_f64 v[92:93], v[131:132], s[8:9], v[86:87]
	v_fma_f64 v[86:87], v[96:97], -0.5, v[106:107]
	v_add_f64 v[135:136], v[98:99], -v[90:91]
	v_add_f64 v[74:75], v[94:95], v[98:99]
	v_fma_f64 v[94:95], v[116:117], s[14:15], v[104:105]
	v_add_f64 v[96:97], v[76:77], v[118:119]
	v_fma_f64 v[104:105], v[129:130], -0.5, v[76:77]
	v_add_f64 v[106:107], v[122:123], -v[110:111]
	v_add_f64 v[82:83], v[82:83], -v[114:115]
	v_fma_f64 v[131:132], v[116:117], s[6:7], v[86:87]
	v_add_f64 v[90:91], v[90:91], -v[98:99]
	v_fma_f64 v[86:87], v[116:117], s[16:17], v[86:87]
	v_fma_f64 v[127:128], v[112:113], s[6:7], v[127:128]
	v_add_f64 v[129:130], v[133:134], v[135:136]
	v_add_f64 v[96:97], v[96:97], v[120:121]
	v_fma_f64 v[98:99], v[106:107], s[6:7], v[104:105]
	v_add_f64 v[114:115], v[125:126], -v[102:103]
	v_add_f64 v[133:134], v[118:119], -v[120:121]
	;; [unrolled: 1-line block ×3, first 2 shown]
	v_fma_f64 v[131:132], v[112:113], s[14:15], v[131:132]
	v_add_f64 v[137:138], v[82:83], v[90:91]
	v_fma_f64 v[112:113], v[112:113], s[12:13], v[86:87]
	v_fma_f64 v[116:117], v[116:117], s[12:13], v[127:128]
	v_add_f64 v[127:128], v[118:119], v[108:109]
	v_add_f64 v[96:97], v[96:97], v[100:101]
	v_fma_f64 v[98:99], v[114:115], s[12:13], v[98:99]
	v_add_f64 v[133:134], v[133:134], v[135:136]
	v_fma_f64 v[82:83], v[129:130], s[8:9], v[94:95]
	v_fma_f64 v[90:91], v[137:138], s[8:9], v[131:132]
	;; [unrolled: 1-line block ×3, first 2 shown]
	v_add_f64 v[112:113], v[125:126], v[102:103]
	v_fma_f64 v[86:87], v[129:130], s[8:9], v[116:117]
	v_add_f64 v[129:130], v[122:123], v[110:111]
	v_fma_f64 v[127:128], v[127:128], -0.5, v[76:77]
	v_add_f64 v[76:77], v[96:97], v[108:109]
	v_fma_f64 v[96:97], v[133:134], s[8:9], v[98:99]
	v_fma_f64 v[98:99], v[106:107], s[16:17], v[104:105]
	v_add_f64 v[131:132], v[100:101], -v[108:109]
	v_add_f64 v[135:136], v[78:79], v[122:123]
	v_fma_f64 v[112:113], v[112:113], -0.5, v[78:79]
	v_add_f64 v[108:109], v[118:119], -v[108:109]
	v_add_f64 v[116:117], v[120:121], -v[118:119]
	;; [unrolled: 1-line block ×3, first 2 shown]
	v_fma_f64 v[78:79], v[129:130], -0.5, v[78:79]
	v_fma_f64 v[104:105], v[114:115], s[16:17], v[127:128]
	v_fma_f64 v[98:99], v[114:115], s[14:15], v[98:99]
	;; [unrolled: 1-line block ×3, first 2 shown]
	v_add_f64 v[118:119], v[135:136], v[125:126]
	v_fma_f64 v[120:121], v[108:109], s[16:17], v[112:113]
	v_add_f64 v[127:128], v[122:123], -v[125:126]
	v_add_f64 v[129:130], v[110:111], -v[102:103]
	v_fma_f64 v[112:113], v[108:109], s[6:7], v[112:113]
	v_add_f64 v[116:117], v[116:117], v[131:132]
	v_fma_f64 v[131:132], v[100:101], s[6:7], v[78:79]
	v_add_f64 v[122:123], v[125:126], -v[122:123]
	v_add_f64 v[125:126], v[102:103], -v[110:111]
	v_fma_f64 v[78:79], v[100:101], s[16:17], v[78:79]
	v_add_f64 v[102:103], v[118:119], v[102:103]
	v_add_f64 v[118:119], v[127:128], v[129:130]
	v_fma_f64 v[112:113], v[100:101], s[12:13], v[112:113]
	v_fma_f64 v[104:105], v[106:107], s[12:13], v[104:105]
	;; [unrolled: 1-line block ×5, first 2 shown]
	v_add_f64 v[122:123], v[122:123], v[125:126]
	v_fma_f64 v[125:126], v[108:109], s[12:13], v[78:79]
	v_add_f64 v[78:79], v[102:103], v[110:111]
	v_fma_f64 v[102:103], v[118:119], s[8:9], v[112:113]
	v_mul_u32_u24_e32 v112, 50, v139
	v_add_lshl_u32 v146, v112, v146, 4
	ds_write_b128 v146, v[72:75]
	ds_write_b128 v146, v[80:83] offset:160
	ds_write_b128 v146, v[88:91] offset:320
	;; [unrolled: 1-line block ×4, first 2 shown]
	v_mad_legacy_u16 v72, v147, 50, v148
	v_fma_f64 v[100:101], v[133:134], s[8:9], v[98:99]
	v_fma_f64 v[98:99], v[118:119], s[8:9], v[114:115]
	v_lshlrev_b32_e32 v147, 4, v72
	v_mov_b32_e32 v72, 41
	v_fma_f64 v[104:105], v[116:117], s[8:9], v[104:105]
	v_fma_f64 v[108:109], v[116:117], s[8:9], v[106:107]
	;; [unrolled: 1-line block ×3, first 2 shown]
	v_mul_lo_u16_sdwa v72, v142, v72 dst_sel:DWORD dst_unused:UNUSED_PAD src0_sel:BYTE_0 src1_sel:DWORD
	v_fma_f64 v[110:111], v[122:123], s[8:9], v[125:126]
	v_lshrrev_b16_e32 v139, 11, v72
	v_mul_lo_u16_e32 v72, 50, v139
	v_sub_u16_e32 v72, v142, v72
	v_and_b32_e32 v188, 0xff, v72
	v_mov_b32_e32 v73, s11
	v_mov_b32_e32 v72, s10
	ds_write_b128 v147, v[76:79]
	ds_write_b128 v147, v[96:99] offset:160
	ds_write_b128 v147, v[104:107] offset:320
	ds_write_b128 v147, v[108:111] offset:480
	ds_write_b128 v147, v[100:103] offset:640
	v_mad_u64_u32 v[108:109], s[26:27], v188, s25, v[72:73]
	s_waitcnt lgkmcnt(0)
	s_barrier
	global_load_dwordx4 v[88:91], v[108:109], off offset:640
	global_load_dwordx4 v[80:83], v[108:109], off offset:656
	;; [unrolled: 1-line block ×9, first 2 shown]
	ds_read_b128 v[108:111], v141 offset:4000
	ds_read_b128 v[112:115], v141 offset:8000
	;; [unrolled: 1-line block ×8, first 2 shown]
	ds_read_b128 v[152:155], v141
	ds_read_b128 v[156:159], v141 offset:36000
	s_waitcnt vmcnt(0) lgkmcnt(0)
	s_barrier
	v_mul_f64 v[137:138], v[110:111], v[90:91]
	v_mul_f64 v[160:161], v[108:109], v[90:91]
	;; [unrolled: 1-line block ×7, first 2 shown]
	v_fma_f64 v[108:109], v[108:109], v[88:89], -v[137:138]
	v_mul_f64 v[137:138], v[114:115], v[82:83]
	v_fma_f64 v[110:111], v[110:111], v[88:89], v[160:161]
	v_mul_f64 v[160:161], v[116:117], v[78:79]
	v_fma_f64 v[114:115], v[114:115], v[80:81], v[162:163]
	v_fma_f64 v[120:121], v[120:121], v[72:73], -v[166:167]
	v_mul_f64 v[162:163], v[148:149], v[94:95]
	v_mul_f64 v[166:167], v[150:151], v[94:95]
	v_fma_f64 v[116:117], v[116:117], v[76:77], -v[164:165]
	v_fma_f64 v[112:113], v[112:113], v[80:81], -v[137:138]
	;; [unrolled: 1-line block ×3, first 2 shown]
	v_fma_f64 v[118:119], v[118:119], v[76:77], v[160:161]
	v_fma_f64 v[122:123], v[122:123], v[72:73], v[170:171]
	v_mul_f64 v[160:161], v[127:128], v[102:103]
	v_mul_f64 v[164:165], v[125:126], v[102:103]
	v_fma_f64 v[150:151], v[150:151], v[92:93], v[162:163]
	v_mul_f64 v[129:130], v[129:130], v[86:87]
	v_add_f64 v[168:169], v[152:153], v[112:113]
	v_add_f64 v[170:171], v[120:121], v[137:138]
	v_mul_f64 v[162:163], v[135:136], v[98:99]
	v_fma_f64 v[148:149], v[148:149], v[92:93], -v[166:167]
	v_fma_f64 v[125:126], v[125:126], v[100:101], -v[160:161]
	v_fma_f64 v[127:128], v[127:128], v[100:101], v[164:165]
	v_add_f64 v[166:167], v[114:115], -v[150:151]
	v_fma_f64 v[129:130], v[131:132], v[84:85], v[129:130]
	v_add_f64 v[160:161], v[168:169], v[120:121]
	v_fma_f64 v[164:165], v[170:171], -0.5, v[152:153]
	v_fma_f64 v[131:132], v[133:134], v[96:97], -v[162:163]
	v_mul_f64 v[133:134], v[133:134], v[98:99]
	v_add_f64 v[168:169], v[112:113], v[148:149]
	v_mul_f64 v[162:163], v[158:159], v[106:107]
	v_mul_f64 v[170:171], v[156:157], v[106:107]
	v_add_f64 v[174:175], v[122:123], -v[129:130]
	v_add_f64 v[160:161], v[160:161], v[137:138]
	v_fma_f64 v[172:173], v[166:167], s[6:7], v[164:165]
	v_add_f64 v[176:177], v[112:113], -v[120:121]
	v_add_f64 v[178:179], v[148:149], -v[137:138]
	v_fma_f64 v[133:134], v[135:136], v[96:97], v[133:134]
	v_fma_f64 v[135:136], v[168:169], -0.5, v[152:153]
	v_fma_f64 v[152:153], v[156:157], v[104:105], -v[162:163]
	v_fma_f64 v[156:157], v[158:159], v[104:105], v[170:171]
	v_add_f64 v[158:159], v[160:161], v[148:149]
	v_fma_f64 v[160:161], v[174:175], s[12:13], v[172:173]
	v_add_f64 v[162:163], v[122:123], v[129:130]
	v_add_f64 v[168:169], v[176:177], v[178:179]
	v_fma_f64 v[164:165], v[166:167], s[16:17], v[164:165]
	v_fma_f64 v[170:171], v[174:175], s[16:17], v[135:136]
	v_add_f64 v[172:173], v[120:121], -v[112:113]
	v_add_f64 v[176:177], v[137:138], -v[148:149]
	v_fma_f64 v[135:136], v[174:175], s[6:7], v[135:136]
	v_add_f64 v[178:179], v[154:155], v[114:115]
	v_fma_f64 v[162:163], v[162:163], -0.5, v[154:155]
	v_add_f64 v[112:113], v[112:113], -v[148:149]
	v_fma_f64 v[148:149], v[168:169], s[8:9], v[160:161]
	v_fma_f64 v[160:161], v[174:175], s[14:15], v[164:165]
	;; [unrolled: 1-line block ×3, first 2 shown]
	v_add_f64 v[170:171], v[172:173], v[176:177]
	v_add_f64 v[172:173], v[114:115], v[150:151]
	v_fma_f64 v[135:136], v[166:167], s[14:15], v[135:136]
	v_add_f64 v[166:167], v[178:179], v[122:123]
	v_fma_f64 v[174:175], v[112:113], s[16:17], v[162:163]
	v_add_f64 v[120:121], v[120:121], -v[137:138]
	v_add_f64 v[137:138], v[114:115], -v[122:123]
	;; [unrolled: 1-line block ×3, first 2 shown]
	v_fma_f64 v[162:163], v[112:113], s[6:7], v[162:163]
	v_fma_f64 v[154:155], v[172:173], -0.5, v[154:155]
	v_add_f64 v[114:115], v[122:123], -v[114:115]
	v_add_f64 v[166:167], v[166:167], v[129:130]
	v_add_f64 v[122:123], v[108:109], v[116:117]
	v_fma_f64 v[164:165], v[170:171], s[8:9], v[164:165]
	v_fma_f64 v[135:136], v[170:171], s[8:9], v[135:136]
	;; [unrolled: 1-line block ×3, first 2 shown]
	v_add_f64 v[137:138], v[137:138], v[176:177]
	v_fma_f64 v[172:173], v[120:121], s[6:7], v[154:155]
	v_add_f64 v[129:130], v[129:130], -v[150:151]
	v_add_f64 v[166:167], v[166:167], v[150:151]
	v_fma_f64 v[150:151], v[120:121], s[12:13], v[162:163]
	v_fma_f64 v[120:121], v[120:121], s[16:17], v[154:155]
	v_add_f64 v[122:123], v[122:123], v[125:126]
	v_fma_f64 v[160:161], v[168:169], s[8:9], v[160:161]
	v_add_f64 v[168:169], v[125:126], v[131:132]
	v_fma_f64 v[170:171], v[137:138], s[8:9], v[170:171]
	v_fma_f64 v[154:155], v[112:113], s[14:15], v[172:173]
	v_add_f64 v[114:115], v[114:115], v[129:130]
	v_add_f64 v[172:173], v[116:117], -v[125:126]
	v_add_f64 v[176:177], v[152:153], -v[131:132]
	v_fma_f64 v[112:113], v[112:113], s[12:13], v[120:121]
	v_add_f64 v[120:121], v[122:123], v[131:132]
	v_fma_f64 v[137:138], v[137:138], s[8:9], v[150:151]
	v_add_f64 v[122:123], v[116:117], v[152:153]
	v_add_f64 v[150:151], v[127:128], v[133:134]
	v_fma_f64 v[168:169], v[168:169], -0.5, v[108:109]
	v_add_f64 v[174:175], v[118:119], -v[156:157]
	v_fma_f64 v[178:179], v[114:115], s[8:9], v[154:155]
	v_add_f64 v[154:155], v[172:173], v[176:177]
	v_fma_f64 v[172:173], v[114:115], s[8:9], v[112:113]
	v_add_f64 v[176:177], v[120:121], v[152:153]
	v_add_f64 v[114:115], v[118:119], v[156:157]
	v_fma_f64 v[108:109], v[122:123], -0.5, v[108:109]
	v_fma_f64 v[120:121], v[150:151], -0.5, v[110:111]
	v_add_f64 v[122:123], v[116:117], -v[152:153]
	v_fma_f64 v[129:130], v[174:175], s[6:7], v[168:169]
	v_add_f64 v[162:163], v[127:128], -v[133:134]
	v_fma_f64 v[112:113], v[174:175], s[16:17], v[168:169]
	v_add_f64 v[116:117], v[125:126], -v[116:117]
	v_add_f64 v[150:151], v[131:132], -v[152:153]
	;; [unrolled: 1-line block ×3, first 2 shown]
	v_fma_f64 v[114:115], v[114:115], -0.5, v[110:111]
	v_fma_f64 v[152:153], v[122:123], s[16:17], v[120:121]
	v_add_f64 v[168:169], v[118:119], -v[127:128]
	v_add_f64 v[180:181], v[156:157], -v[133:134]
	v_add_f64 v[110:111], v[110:111], v[118:119]
	v_fma_f64 v[129:130], v[162:163], s[12:13], v[129:130]
	v_fma_f64 v[112:113], v[162:163], s[14:15], v[112:113]
	;; [unrolled: 1-line block ×3, first 2 shown]
	v_add_f64 v[116:117], v[116:117], v[150:151]
	v_fma_f64 v[150:151], v[125:126], s[6:7], v[114:115]
	v_add_f64 v[118:119], v[127:128], -v[118:119]
	v_add_f64 v[182:183], v[133:134], -v[156:157]
	v_fma_f64 v[108:109], v[162:163], s[6:7], v[108:109]
	v_fma_f64 v[152:153], v[125:126], s[14:15], v[152:153]
	v_add_f64 v[162:163], v[168:169], v[180:181]
	v_fma_f64 v[114:115], v[125:126], s[16:17], v[114:115]
	v_add_f64 v[110:111], v[110:111], v[127:128]
	v_fma_f64 v[120:121], v[122:123], s[6:7], v[120:121]
	v_fma_f64 v[127:128], v[122:123], s[14:15], v[150:151]
	v_add_f64 v[118:119], v[118:119], v[182:183]
	v_fma_f64 v[108:109], v[174:175], s[14:15], v[108:109]
	v_fma_f64 v[131:132], v[174:175], s[12:13], v[131:132]
	;; [unrolled: 1-line block ×4, first 2 shown]
	v_add_f64 v[110:111], v[110:111], v[133:134]
	v_fma_f64 v[120:121], v[125:126], s[12:13], v[120:121]
	v_fma_f64 v[129:130], v[154:155], s[8:9], v[129:130]
	;; [unrolled: 1-line block ×6, first 2 shown]
	v_mul_f64 v[116:117], v[150:151], s[12:13]
	v_fma_f64 v[114:115], v[118:119], s[8:9], v[114:115]
	v_add_f64 v[131:132], v[110:111], v[156:157]
	v_fma_f64 v[110:111], v[162:163], s[8:9], v[120:121]
	v_mul_f64 v[133:134], v[122:123], s[22:23]
	v_mul_f64 v[118:119], v[125:126], s[6:7]
	;; [unrolled: 1-line block ×3, first 2 shown]
	v_add_f64 v[108:109], v[158:159], v[176:177]
	v_fma_f64 v[152:153], v[129:130], s[18:19], v[116:117]
	v_mul_f64 v[116:117], v[129:130], s[14:15]
	v_mul_f64 v[129:130], v[112:113], s[16:17]
	;; [unrolled: 1-line block ×4, first 2 shown]
	v_fma_f64 v[162:163], v[112:113], s[8:9], v[118:119]
	v_fma_f64 v[168:169], v[114:115], s[6:7], v[120:121]
	;; [unrolled: 1-line block ×3, first 2 shown]
	v_add_f64 v[110:111], v[166:167], v[131:132]
	v_fma_f64 v[180:181], v[150:151], s[18:19], v[116:117]
	v_fma_f64 v[182:183], v[125:126], s[8:9], v[129:130]
	;; [unrolled: 1-line block ×4, first 2 shown]
	v_add_f64 v[112:113], v[148:149], v[152:153]
	v_add_f64 v[116:117], v[164:165], v[162:163]
	;; [unrolled: 1-line block ×8, first 2 shown]
	v_add_f64 v[129:130], v[158:159], -v[176:177]
	v_add_f64 v[131:132], v[166:167], -v[131:132]
	v_add_f64 v[133:134], v[148:149], -v[152:153]
	v_add_f64 v[153:154], v[135:136], -v[168:169]
	v_add_f64 v[157:158], v[160:161], -v[174:175]
	v_add_f64 v[135:136], v[170:171], -v[180:181]
	v_add_f64 v[159:160], v[137:138], -v[186:187]
	v_mul_u32_u24_e32 v137, 0x1f4, v139
	v_add_f64 v[149:150], v[164:165], -v[162:163]
	v_add_f64 v[151:152], v[178:179], -v[182:183]
	v_add_lshl_u32 v148, v137, v188, 4
	v_add_f64 v[155:156], v[172:173], -v[184:185]
	ds_write_b128 v148, v[108:111]
	ds_write_b128 v148, v[112:115] offset:800
	ds_write_b128 v148, v[116:119] offset:1600
	;; [unrolled: 1-line block ×9, first 2 shown]
	v_lshlrev_b32_e32 v108, 6, v142
	v_mov_b32_e32 v125, s11
	v_add_co_u32_e32 v110, vcc, s10, v108
	v_addc_co_u32_e32 v111, vcc, 0, v125, vcc
	v_add_co_u32_e32 v108, vcc, s24, v110
	s_movk_i32 s11, 0x1ea0
	v_addc_co_u32_e32 v109, vcc, 0, v111, vcc
	s_waitcnt lgkmcnt(0)
	s_barrier
	global_load_dwordx4 v[112:115], v[108:109], off offset:3744
	v_add_co_u32_e32 v108, vcc, s11, v110
	v_addc_co_u32_e32 v109, vcc, 0, v111, vcc
	global_load_dwordx4 v[116:119], v[108:109], off offset:32
	global_load_dwordx4 v[120:123], v[108:109], off offset:16
	s_nop 0
	global_load_dwordx4 v[108:111], v[108:109], off offset:48
	v_add_co_u32_e32 v126, vcc, s10, v124
	v_addc_co_u32_e32 v127, vcc, 0, v125, vcc
	v_add_co_u32_e32 v124, vcc, s24, v126
	v_addc_co_u32_e32 v125, vcc, 0, v127, vcc
	global_load_dwordx4 v[132:135], v[124:125], off offset:3744
	v_add_co_u32_e32 v124, vcc, s11, v126
	v_addc_co_u32_e32 v125, vcc, 0, v127, vcc
	global_load_dwordx4 v[136:139], v[124:125], off offset:16
	global_load_dwordx4 v[128:131], v[124:125], off offset:32
	s_nop 0
	global_load_dwordx4 v[124:127], v[124:125], off offset:48
	ds_read_b128 v[149:152], v141 offset:8000
	ds_read_b128 v[153:156], v141 offset:4000
	;; [unrolled: 1-line block ×8, first 2 shown]
	ds_read_b128 v[181:184], v141
	ds_read_b128 v[185:188], v141 offset:36000
	s_mov_b32 s10, 0x9c40
	s_waitcnt vmcnt(7) lgkmcnt(9)
	v_mul_f64 v[189:190], v[151:152], v[114:115]
	v_mul_f64 v[191:192], v[149:150], v[114:115]
	s_waitcnt vmcnt(6) lgkmcnt(5)
	v_mul_f64 v[197:198], v[167:168], v[118:119]
	s_waitcnt vmcnt(5)
	v_mul_f64 v[193:194], v[159:160], v[122:123]
	v_mul_f64 v[195:196], v[157:158], v[122:123]
	v_fma_f64 v[189:190], v[149:150], v[112:113], -v[189:190]
	v_mul_f64 v[149:150], v[165:166], v[118:119]
	v_fma_f64 v[191:192], v[151:152], v[112:113], v[191:192]
	v_fma_f64 v[165:166], v[165:166], v[116:117], -v[197:198]
	v_fma_f64 v[151:152], v[157:158], v[120:121], -v[193:194]
	s_waitcnt vmcnt(4) lgkmcnt(3)
	v_mul_f64 v[157:158], v[175:176], v[110:111]
	v_fma_f64 v[159:160], v[159:160], v[120:121], v[195:196]
	v_mul_f64 v[193:194], v[173:174], v[110:111]
	s_waitcnt vmcnt(3)
	v_mul_f64 v[195:196], v[163:164], v[134:135]
	v_fma_f64 v[167:168], v[167:168], v[116:117], v[149:150]
	v_mul_f64 v[149:150], v[161:162], v[134:135]
	s_waitcnt vmcnt(2)
	v_mul_f64 v[197:198], v[171:172], v[138:139]
	v_add_f64 v[209:210], v[151:152], -v[189:190]
	v_fma_f64 v[157:158], v[173:174], v[108:109], -v[157:158]
	s_waitcnt lgkmcnt(1)
	v_add_f64 v[173:174], v[181:182], v[189:190]
	v_fma_f64 v[175:176], v[175:176], v[108:109], v[193:194]
	v_add_f64 v[193:194], v[151:152], v[165:166]
	v_fma_f64 v[195:196], v[161:162], v[132:133], -v[195:196]
	v_mul_f64 v[161:162], v[169:170], v[138:139]
	v_fma_f64 v[199:200], v[163:164], v[132:133], v[149:150]
	v_fma_f64 v[197:198], v[169:170], v[136:137], -v[197:198]
	s_waitcnt vmcnt(1)
	v_mul_f64 v[149:150], v[179:180], v[130:131]
	v_add_f64 v[163:164], v[173:174], v[151:152]
	v_mul_f64 v[169:170], v[177:178], v[130:131]
	v_fma_f64 v[173:174], v[193:194], -0.5, v[181:182]
	v_add_f64 v[193:194], v[191:192], -v[175:176]
	v_fma_f64 v[201:202], v[171:172], v[136:137], v[161:162]
	s_waitcnt vmcnt(0) lgkmcnt(0)
	v_mul_f64 v[161:162], v[187:188], v[126:127]
	v_mul_f64 v[171:172], v[185:186], v[126:127]
	v_add_f64 v[203:204], v[189:190], v[157:158]
	v_add_f64 v[163:164], v[163:164], v[165:166]
	v_fma_f64 v[177:178], v[177:178], v[128:129], -v[149:150]
	v_fma_f64 v[179:180], v[179:180], v[128:129], v[169:170]
	v_fma_f64 v[169:170], v[193:194], s[6:7], v[173:174]
	v_add_f64 v[205:206], v[159:160], -v[167:168]
	v_fma_f64 v[185:186], v[185:186], v[124:125], -v[161:162]
	v_fma_f64 v[187:188], v[187:188], v[124:125], v[171:172]
	v_fma_f64 v[161:162], v[203:204], -0.5, v[181:182]
	v_add_f64 v[149:150], v[163:164], v[157:158]
	v_add_f64 v[163:164], v[189:190], -v[151:152]
	v_add_f64 v[171:172], v[157:158], -v[165:166]
	v_fma_f64 v[173:174], v[193:194], s[16:17], v[173:174]
	v_fma_f64 v[169:170], v[205:206], s[12:13], v[169:170]
	v_add_f64 v[181:182], v[183:184], v[191:192]
	v_add_f64 v[203:204], v[159:160], v[167:168]
	v_fma_f64 v[207:208], v[205:206], s[16:17], v[161:162]
	v_add_f64 v[211:212], v[165:166], -v[157:158]
	v_add_f64 v[189:190], v[189:190], -v[157:158]
	v_add_f64 v[163:164], v[163:164], v[171:172]
	v_fma_f64 v[171:172], v[205:206], s[14:15], v[173:174]
	v_fma_f64 v[173:174], v[205:206], s[6:7], v[161:162]
	v_add_f64 v[181:182], v[181:182], v[159:160]
	v_fma_f64 v[203:204], v[203:204], -0.5, v[183:184]
	v_fma_f64 v[205:206], v[193:194], s[12:13], v[207:208]
	v_add_f64 v[207:208], v[209:210], v[211:212]
	v_add_f64 v[209:210], v[191:192], -v[159:160]
	v_fma_f64 v[157:158], v[163:164], s[8:9], v[169:170]
	v_fma_f64 v[161:162], v[163:164], s[8:9], v[171:172]
	;; [unrolled: 1-line block ×3, first 2 shown]
	v_add_f64 v[173:174], v[191:192], v[175:176]
	v_add_f64 v[171:172], v[181:182], v[167:168]
	v_fma_f64 v[181:182], v[189:190], s[16:17], v[203:204]
	v_add_f64 v[193:194], v[151:152], -v[165:166]
	v_fma_f64 v[165:166], v[207:208], s[8:9], v[205:206]
	v_add_f64 v[205:206], v[197:198], v[177:178]
	v_add_f64 v[211:212], v[175:176], -v[167:168]
	v_fma_f64 v[169:170], v[207:208], s[8:9], v[163:164]
	v_fma_f64 v[163:164], v[173:174], -0.5, v[183:184]
	v_add_f64 v[151:152], v[171:172], v[175:176]
	v_add_f64 v[173:174], v[153:154], v[195:196]
	v_fma_f64 v[171:172], v[193:194], s[14:15], v[181:182]
	v_add_f64 v[183:184], v[199:200], -v[187:188]
	v_fma_f64 v[181:182], v[205:206], -0.5, v[153:154]
	v_add_f64 v[159:160], v[159:160], -v[191:192]
	v_add_f64 v[167:168], v[167:168], -v[175:176]
	v_fma_f64 v[207:208], v[193:194], s[6:7], v[163:164]
	v_fma_f64 v[163:164], v[193:194], s[16:17], v[163:164]
	;; [unrolled: 1-line block ×3, first 2 shown]
	v_add_f64 v[205:206], v[209:210], v[211:212]
	v_add_f64 v[173:174], v[173:174], v[197:198]
	v_fma_f64 v[175:176], v[183:184], s[6:7], v[181:182]
	v_add_f64 v[191:192], v[201:202], -v[179:180]
	v_add_f64 v[209:210], v[195:196], -v[197:198]
	;; [unrolled: 1-line block ×3, first 2 shown]
	v_fma_f64 v[207:208], v[189:190], s[14:15], v[207:208]
	v_add_f64 v[213:214], v[159:160], v[167:168]
	v_fma_f64 v[189:190], v[189:190], s[12:13], v[163:164]
	v_fma_f64 v[193:194], v[193:194], s[12:13], v[203:204]
	v_add_f64 v[203:204], v[195:196], v[185:186]
	v_add_f64 v[173:174], v[173:174], v[177:178]
	v_fma_f64 v[175:176], v[191:192], s[12:13], v[175:176]
	v_add_f64 v[209:210], v[209:210], v[211:212]
	v_fma_f64 v[159:160], v[205:206], s[8:9], v[171:172]
	v_add_f64 v[211:212], v[155:156], v[199:200]
	v_fma_f64 v[171:172], v[213:214], s[8:9], v[189:190]
	v_add_f64 v[189:190], v[201:202], v[179:180]
	v_fma_f64 v[163:164], v[205:206], s[8:9], v[193:194]
	v_add_f64 v[205:206], v[199:200], v[187:188]
	v_fma_f64 v[203:204], v[203:204], -0.5, v[153:154]
	v_fma_f64 v[167:168], v[213:214], s[8:9], v[207:208]
	v_add_f64 v[153:154], v[173:174], v[185:186]
	v_fma_f64 v[173:174], v[209:210], s[8:9], v[175:176]
	v_fma_f64 v[175:176], v[183:184], s[16:17], v[181:182]
	v_add_f64 v[207:208], v[177:178], -v[185:186]
	v_fma_f64 v[189:190], v[189:190], -0.5, v[155:156]
	v_add_f64 v[185:186], v[195:196], -v[185:186]
	v_add_f64 v[193:194], v[197:198], -v[195:196]
	;; [unrolled: 1-line block ×3, first 2 shown]
	v_fma_f64 v[155:156], v[205:206], -0.5, v[155:156]
	v_add_f64 v[195:196], v[211:212], v[201:202]
	v_fma_f64 v[181:182], v[191:192], s[16:17], v[203:204]
	v_fma_f64 v[175:176], v[191:192], s[14:15], v[175:176]
	;; [unrolled: 1-line block ×4, first 2 shown]
	v_add_f64 v[203:204], v[199:200], -v[201:202]
	v_add_f64 v[205:206], v[187:188], -v[179:180]
	v_add_f64 v[193:194], v[193:194], v[207:208]
	v_fma_f64 v[207:208], v[177:178], s[6:7], v[155:156]
	v_add_f64 v[199:200], v[201:202], -v[199:200]
	v_add_f64 v[201:202], v[179:180], -v[187:188]
	v_fma_f64 v[189:190], v[185:186], s[6:7], v[189:190]
	v_fma_f64 v[155:156], v[177:178], s[16:17], v[155:156]
	v_add_f64 v[179:180], v[195:196], v[179:180]
	v_fma_f64 v[181:182], v[183:184], s[12:13], v[181:182]
	v_fma_f64 v[183:184], v[183:184], s[14:15], v[191:192]
	;; [unrolled: 1-line block ×3, first 2 shown]
	v_add_f64 v[195:196], v[203:204], v[205:206]
	v_fma_f64 v[197:198], v[185:186], s[14:15], v[207:208]
	v_add_f64 v[199:200], v[199:200], v[201:202]
	v_fma_f64 v[189:190], v[177:178], s[12:13], v[189:190]
	v_fma_f64 v[201:202], v[185:186], s[12:13], v[155:156]
	v_add_f64 v[155:156], v[179:180], v[187:188]
	v_fma_f64 v[177:178], v[209:210], s[8:9], v[175:176]
	v_fma_f64 v[181:182], v[193:194], s[8:9], v[181:182]
	;; [unrolled: 1-line block ×7, first 2 shown]
	ds_write_b128 v141, v[149:152]
	ds_write_b128 v141, v[157:160] offset:8000
	ds_write_b128 v141, v[165:168] offset:16000
	;; [unrolled: 1-line block ×9, first 2 shown]
	v_add_co_u32_e32 v153, vcc, s10, v143
	v_addc_co_u32_e32 v154, vcc, 0, v144, vcc
	s_mov_b32 s10, 0x9000
	v_add_co_u32_e32 v149, vcc, s10, v143
	v_addc_co_u32_e32 v150, vcc, 0, v144, vcc
	s_waitcnt lgkmcnt(0)
	s_barrier
	global_load_dwordx4 v[149:152], v[149:150], off offset:3136
	s_nop 0
	global_load_dwordx4 v[153:156], v[153:154], off offset:4000
	s_mov_b32 s10, 0xb000
	v_add_co_u32_e32 v157, vcc, s10, v143
	v_addc_co_u32_e32 v158, vcc, 0, v144, vcc
	s_mov_b32 s10, 0xc000
	v_add_co_u32_e32 v161, vcc, s10, v143
	v_addc_co_u32_e32 v162, vcc, 0, v144, vcc
	global_load_dwordx4 v[157:160], v[157:158], off offset:2944
	s_nop 0
	global_load_dwordx4 v[161:164], v[161:162], off offset:2848
	s_mov_b32 s10, 0xd000
	v_add_co_u32_e32 v165, vcc, s10, v143
	v_addc_co_u32_e32 v166, vcc, 0, v144, vcc
	s_mov_b32 s10, 0xe000
	v_add_co_u32_e32 v169, vcc, s10, v143
	v_addc_co_u32_e32 v170, vcc, 0, v144, vcc
	;; [unrolled: 9-line block ×3, first 2 shown]
	s_mov_b32 s10, 0x11000
	v_add_co_u32_e32 v181, vcc, s10, v143
	v_addc_co_u32_e32 v182, vcc, 0, v144, vcc
	s_mov_b32 s10, 0x12000
	global_load_dwordx4 v[173:176], v[173:174], off offset:2560
	s_nop 0
	global_load_dwordx4 v[177:180], v[177:178], off offset:2464
	v_add_co_u32_e32 v143, vcc, s10, v143
	global_load_dwordx4 v[181:184], v[181:182], off offset:2368
	v_addc_co_u32_e32 v144, vcc, 0, v144, vcc
	global_load_dwordx4 v[185:188], v[143:144], off offset:2272
	ds_read_b128 v[189:192], v141
	ds_read_b128 v[193:196], v141 offset:4000
	ds_read_b128 v[197:200], v141 offset:36000
	;; [unrolled: 1-line block ×3, first 2 shown]
	s_waitcnt vmcnt(9) lgkmcnt(3)
	v_mul_f64 v[143:144], v[191:192], v[151:152]
	v_mul_f64 v[151:152], v[189:190], v[151:152]
	s_waitcnt vmcnt(8) lgkmcnt(2)
	v_mul_f64 v[205:206], v[195:196], v[155:156]
	v_mul_f64 v[155:156], v[193:194], v[155:156]
	v_fma_f64 v[189:190], v[189:190], v[149:150], -v[143:144]
	v_fma_f64 v[191:192], v[191:192], v[149:150], v[151:152]
	v_fma_f64 v[149:150], v[193:194], v[153:154], -v[205:206]
	v_fma_f64 v[151:152], v[195:196], v[153:154], v[155:156]
	ds_read_b128 v[153:156], v141 offset:12000
	s_waitcnt vmcnt(7) lgkmcnt(1)
	v_mul_f64 v[143:144], v[203:204], v[159:160]
	v_mul_f64 v[159:160], v[201:202], v[159:160]
	ds_read_b128 v[193:196], v141 offset:24000
	ds_write_b128 v141, v[189:192]
	ds_read_b128 v[189:192], v141 offset:20000
	ds_write_b128 v141, v[149:152] offset:4000
	ds_read_b128 v[149:152], v141 offset:16000
	s_waitcnt vmcnt(6) lgkmcnt(5)
	v_mul_f64 v[205:206], v[155:156], v[163:164]
	v_mul_f64 v[163:164], v[153:154], v[163:164]
	v_fma_f64 v[201:202], v[201:202], v[157:158], -v[143:144]
	s_waitcnt vmcnt(4) lgkmcnt(2)
	v_mul_f64 v[143:144], v[189:190], v[171:172]
	s_waitcnt lgkmcnt(0)
	v_mul_f64 v[207:208], v[151:152], v[167:168]
	v_mul_f64 v[167:168], v[149:150], v[167:168]
	;; [unrolled: 1-line block ×3, first 2 shown]
	v_fma_f64 v[203:204], v[203:204], v[157:158], v[159:160]
	v_fma_f64 v[153:154], v[153:154], v[161:162], -v[205:206]
	v_fma_f64 v[155:156], v[155:156], v[161:162], v[163:164]
	ds_read_b128 v[161:164], v141 offset:28000
	v_fma_f64 v[159:160], v[191:192], v[169:170], v[143:144]
	v_fma_f64 v[149:150], v[149:150], v[165:166], -v[207:208]
	v_fma_f64 v[151:152], v[151:152], v[165:166], v[167:168]
	ds_read_b128 v[165:168], v141 offset:32000
	v_fma_f64 v[157:158], v[189:190], v[169:170], -v[209:210]
	s_waitcnt vmcnt(3)
	v_mul_f64 v[143:144], v[195:196], v[175:176]
	v_mul_f64 v[171:172], v[193:194], v[175:176]
	s_waitcnt vmcnt(2) lgkmcnt(1)
	v_mul_f64 v[175:176], v[163:164], v[179:180]
	v_mul_f64 v[179:180], v[161:162], v[179:180]
	s_waitcnt vmcnt(1) lgkmcnt(0)
	v_mul_f64 v[189:190], v[167:168], v[183:184]
	v_mul_f64 v[183:184], v[165:166], v[183:184]
	s_waitcnt vmcnt(0)
	v_mul_f64 v[191:192], v[199:200], v[187:188]
	v_mul_f64 v[187:188], v[197:198], v[187:188]
	v_fma_f64 v[169:170], v[193:194], v[173:174], -v[143:144]
	v_fma_f64 v[171:172], v[195:196], v[173:174], v[171:172]
	v_fma_f64 v[161:162], v[161:162], v[177:178], -v[175:176]
	v_fma_f64 v[163:164], v[163:164], v[177:178], v[179:180]
	;; [unrolled: 2-line block ×4, first 2 shown]
	ds_write_b128 v141, v[201:204] offset:8000
	ds_write_b128 v141, v[153:156] offset:12000
	ds_write_b128 v141, v[149:152] offset:16000
	ds_write_b128 v141, v[157:160] offset:20000
	ds_write_b128 v141, v[169:172] offset:24000
	ds_write_b128 v141, v[161:164] offset:28000
	ds_write_b128 v141, v[165:168] offset:32000
	ds_write_b128 v141, v[173:176] offset:36000
	s_waitcnt lgkmcnt(0)
	s_barrier
	ds_read_b128 v[149:152], v141 offset:16000
	ds_read_b128 v[153:156], v141 offset:24000
	ds_read_b128 v[157:160], v141
	ds_read_b128 v[161:164], v141 offset:8000
	ds_read_b128 v[165:168], v141 offset:32000
	;; [unrolled: 1-line block ×5, first 2 shown]
	s_waitcnt lgkmcnt(4)
	v_add_f64 v[181:182], v[157:158], v[161:162]
	v_add_f64 v[143:144], v[149:150], v[153:154]
	s_waitcnt lgkmcnt(3)
	v_add_f64 v[189:190], v[163:164], -v[167:168]
	v_add_f64 v[183:184], v[161:162], v[165:166]
	v_add_f64 v[195:196], v[151:152], -v[155:156]
	v_add_f64 v[197:198], v[161:162], -v[149:150]
	;; [unrolled: 1-line block ×3, first 2 shown]
	v_add_f64 v[201:202], v[151:152], v[155:156]
	v_add_f64 v[191:192], v[181:182], v[149:150]
	v_fma_f64 v[143:144], v[143:144], -0.5, v[157:158]
	v_add_f64 v[203:204], v[149:150], -v[161:162]
	v_fma_f64 v[157:158], v[183:184], -0.5, v[157:158]
	v_add_f64 v[205:206], v[153:154], -v[165:166]
	v_add_f64 v[207:208], v[159:160], v[163:164]
	v_add_f64 v[197:198], v[197:198], v[199:200]
	v_fma_f64 v[201:202], v[201:202], -0.5, v[159:160]
	v_add_f64 v[191:192], v[191:192], v[153:154]
	v_fma_f64 v[193:194], v[189:190], s[16:17], v[143:144]
	v_fma_f64 v[143:144], v[189:190], s[6:7], v[143:144]
	;; [unrolled: 1-line block ×4, first 2 shown]
	v_add_f64 v[161:162], v[161:162], -v[165:166]
	v_add_f64 v[149:150], v[149:150], -v[153:154]
	;; [unrolled: 1-line block ×3, first 2 shown]
	v_add_f64 v[191:192], v[191:192], v[165:166]
	v_fma_f64 v[193:194], v[195:196], s[14:15], v[193:194]
	v_fma_f64 v[143:144], v[195:196], s[12:13], v[143:144]
	;; [unrolled: 1-line block ×3, first 2 shown]
	v_add_f64 v[195:196], v[207:208], v[151:152]
	v_fma_f64 v[157:158], v[189:190], s[12:13], v[157:158]
	v_fma_f64 v[199:200], v[161:162], s[6:7], v[201:202]
	;; [unrolled: 1-line block ×3, first 2 shown]
	ds_read_b128 v[181:184], v141 offset:20000
	ds_read_b128 v[185:188], v141 offset:28000
	v_fma_f64 v[193:194], v[197:198], s[8:9], v[193:194]
	v_fma_f64 v[143:144], v[197:198], s[8:9], v[143:144]
	v_add_f64 v[197:198], v[203:204], v[205:206]
	v_add_f64 v[203:204], v[167:168], -v[155:156]
	v_add_f64 v[205:206], v[163:164], v[167:168]
	v_add_f64 v[189:190], v[195:196], v[155:156]
	v_fma_f64 v[199:200], v[149:150], s[12:13], v[199:200]
	v_fma_f64 v[201:202], v[149:150], s[14:15], v[201:202]
	v_add_f64 v[151:152], v[151:152], -v[163:164]
	v_add_f64 v[155:156], v[155:156], -v[167:168]
	v_fma_f64 v[195:196], v[197:198], s[8:9], v[165:166]
	s_waitcnt lgkmcnt(0)
	v_add_f64 v[165:166], v[181:182], v[185:186]
	v_fma_f64 v[197:198], v[197:198], s[8:9], v[157:158]
	v_add_f64 v[157:158], v[173:174], v[177:178]
	v_add_f64 v[153:154], v[153:154], v[203:204]
	v_fma_f64 v[159:160], v[205:206], -0.5, v[159:160]
	v_add_f64 v[189:190], v[189:190], v[167:168]
	v_add_f64 v[203:204], v[179:180], -v[171:172]
	v_add_f64 v[167:168], v[177:178], v[169:170]
	v_fma_f64 v[165:166], v[165:166], -0.5, v[173:174]
	v_add_f64 v[163:164], v[183:184], -v[187:188]
	v_add_f64 v[157:158], v[157:158], v[181:182]
	v_fma_f64 v[199:200], v[153:154], s[8:9], v[199:200]
	v_fma_f64 v[201:202], v[153:154], s[8:9], v[201:202]
	;; [unrolled: 1-line block ×4, first 2 shown]
	v_add_f64 v[205:206], v[177:178], -v[181:182]
	v_fma_f64 v[159:160], v[203:204], s[16:17], v[165:166]
	v_add_f64 v[207:208], v[169:170], -v[185:186]
	v_add_f64 v[209:210], v[183:184], v[187:188]
	v_add_f64 v[151:152], v[151:152], v[155:156]
	;; [unrolled: 1-line block ×3, first 2 shown]
	v_fma_f64 v[157:158], v[167:168], -0.5, v[173:174]
	v_fma_f64 v[153:154], v[161:162], s[12:13], v[153:154]
	v_fma_f64 v[149:150], v[161:162], s[14:15], v[149:150]
	v_fma_f64 v[159:160], v[163:164], s[14:15], v[159:160]
	v_add_f64 v[161:162], v[205:206], v[207:208]
	v_fma_f64 v[167:168], v[209:210], -0.5, v[175:176]
	v_add_f64 v[173:174], v[177:178], -v[169:170]
	v_fma_f64 v[165:166], v[203:204], s[6:7], v[165:166]
	v_fma_f64 v[207:208], v[163:164], s[6:7], v[157:158]
	;; [unrolled: 1-line block ×3, first 2 shown]
	v_add_f64 v[153:154], v[179:180], v[171:172]
	v_fma_f64 v[209:210], v[151:152], s[8:9], v[149:150]
	v_add_f64 v[211:212], v[155:156], v[169:170]
	v_fma_f64 v[151:152], v[161:162], s[8:9], v[159:160]
	v_fma_f64 v[149:150], v[173:174], s[6:7], v[167:168]
	v_add_f64 v[155:156], v[181:182], -v[185:186]
	v_fma_f64 v[159:160], v[163:164], s[12:13], v[165:166]
	v_fma_f64 v[165:166], v[203:204], s[14:15], v[207:208]
	v_add_f64 v[177:178], v[181:182], -v[177:178]
	v_add_f64 v[181:182], v[179:180], -v[183:184]
	;; [unrolled: 1-line block ×3, first 2 shown]
	v_fma_f64 v[153:154], v[153:154], -0.5, v[175:176]
	v_fma_f64 v[167:168], v[173:174], s[16:17], v[167:168]
	v_fma_f64 v[149:150], v[155:156], s[12:13], v[149:150]
	v_add_f64 v[175:176], v[175:176], v[179:180]
	v_add_f64 v[179:180], v[183:184], -v[179:180]
	v_add_f64 v[215:216], v[187:188], -v[171:172]
	;; [unrolled: 1-line block ×3, first 2 shown]
	v_add_f64 v[181:182], v[181:182], v[207:208]
	v_fma_f64 v[213:214], v[155:156], s[16:17], v[153:154]
	v_fma_f64 v[153:154], v[155:156], s[6:7], v[153:154]
	;; [unrolled: 1-line block ×4, first 2 shown]
	v_add_f64 v[163:164], v[175:176], v[183:184]
	v_add_f64 v[179:180], v[179:180], v[215:216]
	v_fma_f64 v[159:160], v[161:162], s[8:9], v[159:160]
	v_fma_f64 v[167:168], v[181:182], s[8:9], v[149:150]
	;; [unrolled: 1-line block ×4, first 2 shown]
	v_add_f64 v[149:150], v[177:178], v[169:170]
	v_fma_f64 v[157:158], v[203:204], s[12:13], v[157:158]
	v_add_f64 v[163:164], v[163:164], v[187:188]
	v_fma_f64 v[155:156], v[181:182], s[8:9], v[155:156]
	v_mul_f64 v[169:170], v[167:168], s[14:15]
	v_fma_f64 v[161:162], v[179:180], s[8:9], v[175:176]
	v_fma_f64 v[153:154], v[179:180], s[8:9], v[153:154]
	;; [unrolled: 1-line block ×4, first 2 shown]
	v_add_f64 v[171:172], v[163:164], v[171:172]
	v_mul_f64 v[175:176], v[155:156], s[14:15]
	v_mul_f64 v[155:156], v[155:156], s[22:23]
	v_fma_f64 v[177:178], v[151:152], s[18:19], v[169:170]
	v_mul_f64 v[151:152], v[151:152], s[12:13]
	v_mul_f64 v[163:164], v[161:162], s[16:17]
	;; [unrolled: 1-line block ×5, first 2 shown]
	v_fma_f64 v[175:176], v[159:160], s[22:23], v[175:176]
	v_fma_f64 v[207:208], v[159:160], s[12:13], v[155:156]
	v_add_f64 v[149:150], v[191:192], v[211:212]
	v_fma_f64 v[183:184], v[167:168], s[18:19], v[151:152]
	v_fma_f64 v[179:180], v[165:166], s[8:9], v[163:164]
	;; [unrolled: 1-line block ×5, first 2 shown]
	v_add_f64 v[151:152], v[189:190], v[171:172]
	v_add_f64 v[153:154], v[193:194], v[177:178]
	;; [unrolled: 1-line block ×9, first 2 shown]
	v_add_f64 v[169:170], v[191:192], -v[211:212]
	v_add_f64 v[171:172], v[189:190], -v[171:172]
	;; [unrolled: 1-line block ×10, first 2 shown]
	s_barrier
	ds_write_b128 v145, v[149:152]
	ds_write_b128 v145, v[153:156] offset:16
	ds_write_b128 v145, v[157:160] offset:32
	ds_write_b128 v145, v[161:164] offset:48
	ds_write_b128 v145, v[165:168] offset:64
	ds_write_b128 v145, v[169:172] offset:80
	ds_write_b128 v145, v[173:176] offset:96
	ds_write_b128 v145, v[177:180] offset:112
	ds_write_b128 v145, v[181:184] offset:128
	ds_write_b128 v145, v[185:188] offset:144
	s_waitcnt lgkmcnt(0)
	s_barrier
	ds_read_b128 v[149:152], v141 offset:8000
	ds_read_b128 v[153:156], v141 offset:4000
	;; [unrolled: 1-line block ×6, first 2 shown]
	s_waitcnt lgkmcnt(5)
	v_mul_f64 v[143:144], v[58:59], v[151:152]
	v_mul_f64 v[58:59], v[58:59], v[149:150]
	s_waitcnt lgkmcnt(3)
	v_mul_f64 v[189:190], v[50:51], v[159:160]
	s_waitcnt lgkmcnt(1)
	v_mul_f64 v[191:192], v[46:47], v[167:168]
	ds_read_b128 v[173:176], v141 offset:32000
	ds_read_b128 v[177:180], v141 offset:28000
	v_mul_f64 v[50:51], v[50:51], v[157:158]
	v_mul_f64 v[46:47], v[46:47], v[165:166]
	ds_read_b128 v[181:184], v141
	ds_read_b128 v[185:188], v141 offset:36000
	v_fma_f64 v[143:144], v[56:57], v[149:150], v[143:144]
	v_fma_f64 v[58:59], v[56:57], v[151:152], -v[58:59]
	v_fma_f64 v[56:57], v[48:49], v[157:158], v[189:190]
	s_waitcnt lgkmcnt(3)
	v_mul_f64 v[149:150], v[42:43], v[175:176]
	v_mul_f64 v[42:43], v[42:43], v[173:174]
	v_fma_f64 v[151:152], v[44:45], v[165:166], v[191:192]
	v_fma_f64 v[50:51], v[48:49], v[159:160], -v[50:51]
	v_mul_f64 v[48:49], v[70:71], v[163:164]
	v_fma_f64 v[46:47], v[44:45], v[167:168], -v[46:47]
	v_mul_f64 v[44:45], v[70:71], v[161:162]
	v_mul_f64 v[70:71], v[66:67], v[171:172]
	v_fma_f64 v[149:150], v[40:41], v[173:174], v[149:150]
	s_waitcnt lgkmcnt(1)
	v_add_f64 v[157:158], v[181:182], v[143:144]
	v_fma_f64 v[159:160], v[40:41], v[175:176], -v[42:43]
	v_add_f64 v[40:41], v[56:57], v[151:152]
	v_mul_f64 v[42:43], v[66:67], v[169:170]
	v_fma_f64 v[161:162], v[68:69], v[161:162], v[48:49]
	v_fma_f64 v[66:67], v[68:69], v[163:164], -v[44:45]
	v_fma_f64 v[68:69], v[64:65], v[169:170], v[70:71]
	v_mul_f64 v[44:45], v[62:63], v[179:180]
	v_add_f64 v[48:49], v[157:158], v[56:57]
	v_mul_f64 v[62:63], v[62:63], v[177:178]
	v_fma_f64 v[70:71], v[40:41], -0.5, v[181:182]
	v_fma_f64 v[163:164], v[64:65], v[171:172], -v[42:43]
	s_waitcnt lgkmcnt(0)
	v_mul_f64 v[40:41], v[54:55], v[187:188]
	v_mul_f64 v[42:43], v[54:55], v[185:186]
	v_add_f64 v[54:55], v[143:144], v[149:150]
	v_add_f64 v[157:158], v[58:59], -v[159:160]
	v_add_f64 v[48:49], v[48:49], v[151:152]
	v_fma_f64 v[165:166], v[60:61], v[177:178], v[44:45]
	v_fma_f64 v[62:63], v[60:61], v[179:180], -v[62:63]
	v_add_f64 v[60:61], v[50:51], -v[46:47]
	v_fma_f64 v[167:168], v[52:53], v[185:186], v[40:41]
	v_fma_f64 v[169:170], v[52:53], v[187:188], -v[42:43]
	v_fma_f64 v[42:43], v[54:55], -0.5, v[181:182]
	v_fma_f64 v[44:45], v[157:158], s[16:17], v[70:71]
	v_add_f64 v[40:41], v[48:49], v[149:150]
	v_add_f64 v[48:49], v[143:144], -v[56:57]
	v_add_f64 v[52:53], v[149:150], -v[151:152]
	v_fma_f64 v[54:55], v[157:158], s[6:7], v[70:71]
	v_add_f64 v[64:65], v[183:184], v[58:59]
	v_add_f64 v[70:71], v[50:51], v[46:47]
	v_fma_f64 v[171:172], v[60:61], s[6:7], v[42:43]
	v_add_f64 v[173:174], v[56:57], -v[143:144]
	v_add_f64 v[175:176], v[151:152], -v[149:150]
	v_fma_f64 v[42:43], v[60:61], s[16:17], v[42:43]
	v_fma_f64 v[44:45], v[60:61], s[14:15], v[44:45]
	v_add_f64 v[48:49], v[48:49], v[52:53]
	v_fma_f64 v[52:53], v[60:61], s[12:13], v[54:55]
	v_add_f64 v[54:55], v[64:65], v[50:51]
	v_fma_f64 v[60:61], v[70:71], -0.5, v[183:184]
	v_add_f64 v[64:65], v[143:144], -v[149:150]
	v_fma_f64 v[70:71], v[157:158], s[14:15], v[171:172]
	v_add_f64 v[143:144], v[173:174], v[175:176]
	v_fma_f64 v[42:43], v[157:158], s[12:13], v[42:43]
	v_add_f64 v[149:150], v[58:59], v[159:160]
	v_fma_f64 v[44:45], v[48:49], s[8:9], v[44:45]
	v_fma_f64 v[48:49], v[48:49], s[8:9], v[52:53]
	v_add_f64 v[151:152], v[56:57], -v[151:152]
	v_add_f64 v[171:172], v[58:59], -v[50:51]
	;; [unrolled: 1-line block ×3, first 2 shown]
	v_fma_f64 v[52:53], v[143:144], s[8:9], v[70:71]
	v_fma_f64 v[56:57], v[143:144], s[8:9], v[42:43]
	v_fma_f64 v[143:144], v[149:150], -0.5, v[183:184]
	v_add_f64 v[54:55], v[54:55], v[46:47]
	v_fma_f64 v[157:158], v[64:65], s[6:7], v[60:61]
	v_add_f64 v[70:71], v[68:69], v[165:166]
	v_fma_f64 v[60:61], v[64:65], s[16:17], v[60:61]
	v_add_f64 v[171:172], v[171:172], v[173:174]
	v_add_f64 v[50:51], v[50:51], -v[58:59]
	v_add_f64 v[46:47], v[46:47], -v[159:160]
	v_fma_f64 v[173:174], v[151:152], s[16:17], v[143:144]
	v_add_f64 v[42:43], v[54:55], v[159:160]
	v_fma_f64 v[54:55], v[151:152], s[12:13], v[157:158]
	v_add_f64 v[149:150], v[153:154], v[161:162]
	v_fma_f64 v[70:71], v[70:71], -0.5, v[153:154]
	v_add_f64 v[157:158], v[66:67], -v[169:170]
	v_fma_f64 v[58:59], v[151:152], s[6:7], v[143:144]
	v_fma_f64 v[60:61], v[151:152], s[14:15], v[60:61]
	v_add_f64 v[151:152], v[161:162], v[167:168]
	v_fma_f64 v[173:174], v[64:65], s[12:13], v[173:174]
	v_add_f64 v[179:180], v[50:51], v[46:47]
	v_add_f64 v[143:144], v[149:150], v[68:69]
	v_add_f64 v[159:160], v[163:164], -v[62:63]
	v_fma_f64 v[149:150], v[157:158], s[16:17], v[70:71]
	v_add_f64 v[175:176], v[161:162], -v[68:69]
	v_add_f64 v[177:178], v[167:168], -v[165:166]
	v_fma_f64 v[151:152], v[151:152], -0.5, v[153:154]
	v_add_f64 v[153:154], v[163:164], v[62:63]
	v_fma_f64 v[46:47], v[171:172], s[8:9], v[54:55]
	v_fma_f64 v[54:55], v[179:180], s[8:9], v[173:174]
	v_add_f64 v[173:174], v[66:67], v[169:170]
	v_fma_f64 v[58:59], v[64:65], s[14:15], v[58:59]
	v_add_f64 v[64:65], v[143:144], v[165:166]
	;; [unrolled: 2-line block ×4, first 2 shown]
	v_fma_f64 v[50:51], v[171:172], s[8:9], v[60:61]
	v_add_f64 v[171:172], v[68:69], -v[161:162]
	v_add_f64 v[175:176], v[165:166], -v[167:168]
	v_fma_f64 v[153:154], v[153:154], -0.5, v[155:156]
	v_add_f64 v[161:162], v[161:162], -v[167:168]
	v_add_f64 v[68:69], v[68:69], -v[165:166]
	v_fma_f64 v[155:156], v[173:174], -0.5, v[155:156]
	v_add_f64 v[60:61], v[64:65], v[167:168]
	v_fma_f64 v[64:65], v[149:150], s[8:9], v[143:144]
	v_fma_f64 v[143:144], v[159:160], s[6:7], v[151:152]
	;; [unrolled: 1-line block ×4, first 2 shown]
	v_add_f64 v[159:160], v[177:178], v[163:164]
	v_add_f64 v[165:166], v[171:172], v[175:176]
	v_fma_f64 v[167:168], v[161:162], s[6:7], v[153:154]
	v_add_f64 v[171:172], v[66:67], -v[163:164]
	v_add_f64 v[173:174], v[169:170], -v[62:63]
	v_fma_f64 v[175:176], v[68:69], s[16:17], v[155:156]
	v_add_f64 v[66:67], v[163:164], -v[66:67]
	v_add_f64 v[163:164], v[62:63], -v[169:170]
	v_fma_f64 v[153:154], v[161:162], s[16:17], v[153:154]
	v_fma_f64 v[155:156], v[68:69], s[6:7], v[155:156]
	v_add_f64 v[62:63], v[159:160], v[62:63]
	v_fma_f64 v[143:144], v[157:158], s[14:15], v[143:144]
	v_fma_f64 v[151:152], v[157:158], s[12:13], v[151:152]
	;; [unrolled: 1-line block ×3, first 2 shown]
	v_add_f64 v[159:160], v[171:172], v[173:174]
	v_fma_f64 v[171:172], v[161:162], s[12:13], v[175:176]
	v_add_f64 v[163:164], v[66:67], v[163:164]
	v_fma_f64 v[167:168], v[68:69], s[14:15], v[153:154]
	v_fma_f64 v[155:156], v[161:162], s[14:15], v[155:156]
	;; [unrolled: 1-line block ×3, first 2 shown]
	v_add_f64 v[62:63], v[62:63], v[169:170]
	v_fma_f64 v[68:69], v[149:150], s[8:9], v[70:71]
	v_fma_f64 v[66:67], v[159:160], s[8:9], v[157:158]
	;; [unrolled: 1-line block ×7, first 2 shown]
	s_barrier
	ds_write_b128 v146, v[40:43]
	ds_write_b128 v146, v[44:47] offset:160
	ds_write_b128 v146, v[52:55] offset:320
	;; [unrolled: 1-line block ×4, first 2 shown]
	ds_write_b128 v147, v[60:63]
	ds_write_b128 v147, v[64:67] offset:160
	ds_write_b128 v147, v[149:152] offset:320
	ds_write_b128 v147, v[153:156] offset:480
	ds_write_b128 v147, v[68:71] offset:640
	s_waitcnt lgkmcnt(0)
	s_barrier
	ds_read_b128 v[42:45], v141 offset:4000
	ds_read_b128 v[46:49], v141 offset:8000
	;; [unrolled: 1-line block ×8, first 2 shown]
	s_waitcnt lgkmcnt(6)
	v_mul_f64 v[157:158], v[82:83], v[48:49]
	v_mul_f64 v[70:71], v[90:91], v[44:45]
	;; [unrolled: 1-line block ×3, first 2 shown]
	ds_read_b128 v[149:152], v141
	ds_read_b128 v[153:156], v141 offset:36000
	s_waitcnt lgkmcnt(0)
	s_barrier
	v_mad_u64_u32 v[40:41], s[10:11], s2, v140, 0
	v_fma_f64 v[42:43], v[88:89], v[42:43], v[70:71]
	v_mul_f64 v[70:71], v[82:83], v[46:47]
	v_mul_f64 v[82:83], v[74:75], v[56:57]
	v_fma_f64 v[44:45], v[88:89], v[44:45], -v[90:91]
	v_mul_f64 v[88:89], v[86:87], v[64:65]
	v_mul_f64 v[74:75], v[74:75], v[54:55]
	v_fma_f64 v[46:47], v[80:81], v[46:47], v[157:158]
	v_mul_f64 v[90:91], v[78:79], v[52:53]
	v_mul_f64 v[78:79], v[78:79], v[50:51]
	v_fma_f64 v[48:49], v[80:81], v[48:49], -v[70:71]
	v_fma_f64 v[54:55], v[72:73], v[54:55], v[82:83]
	v_mul_f64 v[70:71], v[102:103], v[60:61]
	v_fma_f64 v[80:81], v[84:85], v[62:63], v[88:89]
	v_mul_f64 v[82:83], v[94:95], v[143:144]
	v_fma_f64 v[56:57], v[72:73], v[56:57], -v[74:75]
	v_mul_f64 v[72:73], v[102:103], v[58:59]
	v_mul_f64 v[74:75], v[94:95], v[145:146]
	v_fma_f64 v[50:51], v[76:77], v[50:51], v[90:91]
	v_fma_f64 v[52:53], v[76:77], v[52:53], -v[78:79]
	v_fma_f64 v[58:59], v[100:101], v[58:59], v[70:71]
	v_add_f64 v[70:71], v[54:55], v[80:81]
	v_fma_f64 v[76:77], v[92:93], v[145:146], -v[82:83]
	v_mul_f64 v[62:63], v[86:87], v[62:63]
	v_mul_f64 v[78:79], v[98:99], v[68:69]
	v_fma_f64 v[60:61], v[100:101], v[60:61], -v[72:73]
	v_fma_f64 v[72:73], v[92:93], v[143:144], v[74:75]
	v_add_f64 v[74:75], v[149:150], v[46:47]
	v_mul_f64 v[82:83], v[98:99], v[66:67]
	v_fma_f64 v[70:71], v[70:71], -0.5, v[149:150]
	v_add_f64 v[86:87], v[48:49], -v[76:77]
	v_fma_f64 v[62:63], v[84:85], v[64:65], -v[62:63]
	v_fma_f64 v[64:65], v[96:97], v[66:67], v[78:79]
	v_add_f64 v[90:91], v[46:47], -v[54:55]
	v_add_f64 v[78:79], v[46:47], v[72:73]
	v_add_f64 v[74:75], v[74:75], v[54:55]
	v_add_f64 v[92:93], v[72:73], -v[80:81]
	v_fma_f64 v[66:67], v[96:97], v[68:69], -v[82:83]
	v_fma_f64 v[84:85], v[86:87], s[16:17], v[70:71]
	v_add_f64 v[88:89], v[56:57], -v[62:63]
	v_fma_f64 v[70:71], v[86:87], s[6:7], v[70:71]
	v_add_f64 v[94:95], v[56:57], v[62:63]
	v_fma_f64 v[78:79], v[78:79], -0.5, v[149:150]
	v_add_f64 v[74:75], v[74:75], v[80:81]
	v_add_f64 v[90:91], v[90:91], v[92:93]
	v_add_f64 v[96:97], v[54:55], -v[46:47]
	v_add_f64 v[98:99], v[80:81], -v[72:73]
	v_fma_f64 v[84:85], v[88:89], s[14:15], v[84:85]
	v_fma_f64 v[70:71], v[88:89], s[12:13], v[70:71]
	v_add_f64 v[100:101], v[151:152], v[48:49]
	v_fma_f64 v[92:93], v[88:89], s[6:7], v[78:79]
	v_fma_f64 v[94:95], v[94:95], -0.5, v[151:152]
	v_add_f64 v[46:47], v[46:47], -v[72:73]
	v_mul_f64 v[68:69], v[106:107], v[155:156]
	v_mul_f64 v[82:83], v[106:107], v[153:154]
	v_add_f64 v[72:73], v[74:75], v[72:73]
	v_fma_f64 v[74:75], v[90:91], s[8:9], v[84:85]
	v_fma_f64 v[84:85], v[90:91], s[8:9], v[70:71]
	;; [unrolled: 1-line block ×3, first 2 shown]
	v_add_f64 v[90:91], v[96:97], v[98:99]
	v_fma_f64 v[78:79], v[88:89], s[16:17], v[78:79]
	v_add_f64 v[88:89], v[100:101], v[56:57]
	v_fma_f64 v[92:93], v[46:47], s[6:7], v[94:95]
	v_add_f64 v[54:55], v[54:55], -v[80:81]
	v_add_f64 v[80:81], v[48:49], -v[56:57]
	v_add_f64 v[96:97], v[76:77], -v[62:63]
	v_fma_f64 v[94:95], v[46:47], s[16:17], v[94:95]
	v_add_f64 v[98:99], v[48:49], v[76:77]
	v_fma_f64 v[68:69], v[104:105], v[153:154], v[68:69]
	v_fma_f64 v[82:83], v[104:105], v[155:156], -v[82:83]
	v_fma_f64 v[78:79], v[86:87], s[12:13], v[78:79]
	v_add_f64 v[86:87], v[88:89], v[62:63]
	v_add_f64 v[88:89], v[58:59], v[64:65]
	v_fma_f64 v[92:93], v[54:55], s[12:13], v[92:93]
	v_add_f64 v[80:81], v[80:81], v[96:97]
	v_fma_f64 v[94:95], v[54:55], s[14:15], v[94:95]
	v_fma_f64 v[96:97], v[98:99], -0.5, v[151:152]
	v_fma_f64 v[70:71], v[90:91], s[8:9], v[70:71]
	v_fma_f64 v[78:79], v[90:91], s[8:9], v[78:79]
	v_add_f64 v[90:91], v[42:43], v[50:51]
	v_fma_f64 v[88:89], v[88:89], -0.5, v[42:43]
	v_add_f64 v[98:99], v[52:53], -v[82:83]
	v_fma_f64 v[92:93], v[80:81], s[8:9], v[92:93]
	v_fma_f64 v[80:81], v[80:81], s[8:9], v[94:95]
	;; [unrolled: 1-line block ×4, first 2 shown]
	v_add_f64 v[96:97], v[50:51], v[68:69]
	v_add_f64 v[86:87], v[86:87], v[76:77]
	v_add_f64 v[48:49], v[56:57], -v[48:49]
	v_add_f64 v[56:57], v[62:63], -v[76:77]
	v_add_f64 v[62:63], v[90:91], v[58:59]
	v_fma_f64 v[76:77], v[98:99], s[16:17], v[88:89]
	v_add_f64 v[90:91], v[60:61], -v[66:67]
	v_add_f64 v[100:101], v[50:51], -v[58:59]
	v_add_f64 v[102:103], v[68:69], -v[64:65]
	v_add_f64 v[104:105], v[60:61], v[66:67]
	v_fma_f64 v[42:43], v[96:97], -0.5, v[42:43]
	v_fma_f64 v[94:95], v[46:47], s[12:13], v[94:95]
	v_add_f64 v[48:49], v[48:49], v[56:57]
	v_fma_f64 v[46:47], v[46:47], s[14:15], v[54:55]
	v_add_f64 v[54:55], v[62:63], v[64:65]
	;; [unrolled: 2-line block ×3, first 2 shown]
	v_fma_f64 v[76:77], v[104:105], -0.5, v[44:45]
	v_add_f64 v[96:97], v[50:51], -v[68:69]
	v_add_f64 v[100:101], v[52:53], v[82:83]
	v_fma_f64 v[102:103], v[90:91], s[6:7], v[42:43]
	v_fma_f64 v[94:95], v[48:49], s[8:9], v[94:95]
	;; [unrolled: 1-line block ×3, first 2 shown]
	v_add_f64 v[106:107], v[54:55], v[68:69]
	v_fma_f64 v[48:49], v[62:63], s[8:9], v[56:57]
	v_add_f64 v[54:55], v[58:59], -v[64:65]
	v_fma_f64 v[46:47], v[96:97], s[6:7], v[76:77]
	v_fma_f64 v[56:57], v[100:101], -0.5, v[44:45]
	v_fma_f64 v[100:101], v[98:99], s[14:15], v[102:103]
	v_add_f64 v[50:51], v[58:59], -v[50:51]
	v_add_f64 v[58:59], v[52:53], -v[60:61]
	;; [unrolled: 1-line block ×3, first 2 shown]
	v_add_f64 v[44:45], v[44:45], v[52:53]
	v_add_f64 v[52:53], v[60:61], -v[52:53]
	v_fma_f64 v[46:47], v[54:55], s[12:13], v[46:47]
	v_fma_f64 v[143:144], v[54:55], s[16:17], v[56:57]
	v_add_f64 v[145:146], v[66:67], -v[82:83]
	v_fma_f64 v[56:57], v[54:55], s[6:7], v[56:57]
	v_fma_f64 v[76:77], v[96:97], s[16:17], v[76:77]
	v_add_f64 v[58:59], v[58:59], v[102:103]
	v_add_f64 v[44:45], v[44:45], v[60:61]
	v_add_f64 v[64:65], v[64:65], -v[68:69]
	v_fma_f64 v[42:43], v[90:91], s[16:17], v[42:43]
	v_fma_f64 v[60:61], v[96:97], s[12:13], v[143:144]
	v_add_f64 v[52:53], v[52:53], v[145:146]
	v_fma_f64 v[56:57], v[96:97], s[14:15], v[56:57]
	v_fma_f64 v[88:89], v[98:99], s[6:7], v[88:89]
	;; [unrolled: 1-line block ×4, first 2 shown]
	v_add_f64 v[50:51], v[50:51], v[64:65]
	v_add_f64 v[44:45], v[44:45], v[66:67]
	v_fma_f64 v[42:43], v[98:99], s[12:13], v[42:43]
	v_fma_f64 v[60:61], v[52:53], s[8:9], v[60:61]
	;; [unrolled: 1-line block ×4, first 2 shown]
	v_mul_f64 v[56:57], v[46:47], s[14:15]
	v_fma_f64 v[54:55], v[58:59], s[8:9], v[54:55]
	v_fma_f64 v[58:59], v[50:51], s[8:9], v[100:101]
	v_add_f64 v[64:65], v[44:45], v[82:83]
	v_fma_f64 v[50:51], v[50:51], s[8:9], v[42:43]
	v_mul_f64 v[44:45], v[60:61], s[16:17]
	v_mul_f64 v[60:61], v[60:61], s[8:9]
	;; [unrolled: 1-line block ×3, first 2 shown]
	v_fma_f64 v[76:77], v[48:49], s[18:19], v[56:57]
	v_mul_f64 v[56:57], v[46:47], s[18:19]
	v_mul_f64 v[52:53], v[52:53], s[20:21]
	v_fma_f64 v[62:63], v[62:63], s[8:9], v[88:89]
	v_mul_f64 v[68:69], v[54:55], s[14:15]
	v_mul_f64 v[54:55], v[54:55], s[22:23]
	v_fma_f64 v[82:83], v[58:59], s[8:9], v[44:45]
	v_fma_f64 v[96:97], v[58:59], s[6:7], v[60:61]
	;; [unrolled: 1-line block ×5, first 2 shown]
	v_add_f64 v[42:43], v[72:73], v[106:107]
	v_fma_f64 v[68:69], v[62:63], s[22:23], v[68:69]
	v_fma_f64 v[100:101], v[62:63], s[12:13], v[54:55]
	v_add_f64 v[44:45], v[86:87], v[64:65]
	v_add_f64 v[46:47], v[74:75], v[76:77]
	;; [unrolled: 1-line block ×9, first 2 shown]
	v_add_f64 v[62:63], v[72:73], -v[106:107]
	v_add_f64 v[64:65], v[86:87], -v[64:65]
	;; [unrolled: 1-line block ×10, first 2 shown]
	ds_write_b128 v148, v[42:45]
	ds_write_b128 v148, v[46:49] offset:800
	ds_write_b128 v148, v[50:53] offset:1600
	;; [unrolled: 1-line block ×9, first 2 shown]
	s_waitcnt lgkmcnt(0)
	s_barrier
	ds_read_b128 v[42:45], v141 offset:8000
	ds_read_b128 v[46:49], v141 offset:4000
	;; [unrolled: 1-line block ×6, first 2 shown]
	s_waitcnt lgkmcnt(5)
	v_mul_f64 v[82:83], v[114:115], v[44:45]
	v_mul_f64 v[84:85], v[114:115], v[42:43]
	s_waitcnt lgkmcnt(3)
	v_mul_f64 v[86:87], v[122:123], v[52:53]
	ds_read_b128 v[66:69], v141 offset:32000
	ds_read_b128 v[70:73], v141 offset:28000
	v_mul_f64 v[88:89], v[122:123], v[50:51]
	s_waitcnt lgkmcnt(3)
	v_mul_f64 v[90:91], v[118:119], v[60:61]
	ds_read_b128 v[74:77], v141
	ds_read_b128 v[78:81], v141 offset:36000
	v_fma_f64 v[82:83], v[112:113], v[42:43], v[82:83]
	v_mul_f64 v[42:43], v[118:119], v[58:59]
	v_fma_f64 v[84:85], v[112:113], v[44:45], -v[84:85]
	v_fma_f64 v[44:45], v[120:121], v[50:51], v[86:87]
	s_waitcnt lgkmcnt(3)
	v_mul_f64 v[50:51], v[110:111], v[68:69]
	v_fma_f64 v[52:53], v[120:121], v[52:53], -v[88:89]
	v_mul_f64 v[86:87], v[110:111], v[66:67]
	v_fma_f64 v[58:59], v[116:117], v[58:59], v[90:91]
	v_mul_f64 v[88:89], v[134:135], v[56:57]
	v_fma_f64 v[60:61], v[116:117], v[60:61], -v[42:43]
	v_mul_f64 v[42:43], v[134:135], v[54:55]
	v_mul_f64 v[90:91], v[138:139], v[64:65]
	v_fma_f64 v[50:51], v[108:109], v[66:67], v[50:51]
	s_waitcnt lgkmcnt(1)
	v_add_f64 v[66:67], v[74:75], v[82:83]
	v_fma_f64 v[68:69], v[108:109], v[68:69], -v[86:87]
	v_add_f64 v[86:87], v[44:45], v[58:59]
	v_fma_f64 v[88:89], v[132:133], v[54:55], v[88:89]
	v_mul_f64 v[54:55], v[138:139], v[62:63]
	v_fma_f64 v[92:93], v[132:133], v[56:57], -v[42:43]
	v_fma_f64 v[90:91], v[136:137], v[62:63], v[90:91]
	v_mul_f64 v[42:43], v[130:131], v[72:73]
	v_add_f64 v[56:57], v[66:67], v[44:45]
	v_mul_f64 v[62:63], v[130:131], v[70:71]
	v_fma_f64 v[66:67], v[86:87], -0.5, v[74:75]
	v_add_f64 v[86:87], v[84:85], -v[68:69]
	v_fma_f64 v[94:95], v[136:137], v[64:65], -v[54:55]
	s_waitcnt lgkmcnt(0)
	v_mul_f64 v[54:55], v[126:127], v[80:81]
	v_mul_f64 v[64:65], v[126:127], v[78:79]
	v_add_f64 v[96:97], v[82:83], v[50:51]
	v_add_f64 v[56:57], v[56:57], v[58:59]
	v_fma_f64 v[70:71], v[128:129], v[70:71], v[42:43]
	v_fma_f64 v[72:73], v[128:129], v[72:73], -v[62:63]
	v_fma_f64 v[62:63], v[86:87], s[16:17], v[66:67]
	v_add_f64 v[98:99], v[52:53], -v[60:61]
	v_fma_f64 v[78:79], v[124:125], v[78:79], v[54:55]
	v_fma_f64 v[80:81], v[124:125], v[80:81], -v[64:65]
	v_fma_f64 v[54:55], v[96:97], -0.5, v[74:75]
	v_add_f64 v[42:43], v[56:57], v[50:51]
	v_add_f64 v[56:57], v[82:83], -v[44:45]
	v_add_f64 v[64:65], v[50:51], -v[58:59]
	v_fma_f64 v[66:67], v[86:87], s[6:7], v[66:67]
	v_fma_f64 v[62:63], v[98:99], s[14:15], v[62:63]
	v_add_f64 v[74:75], v[76:77], v[84:85]
	v_add_f64 v[96:97], v[52:53], v[60:61]
	v_fma_f64 v[100:101], v[98:99], s[6:7], v[54:55]
	v_add_f64 v[102:103], v[44:45], -v[82:83]
	v_add_f64 v[104:105], v[58:59], -v[50:51]
	v_add_f64 v[56:57], v[56:57], v[64:65]
	v_fma_f64 v[64:65], v[98:99], s[12:13], v[66:67]
	v_fma_f64 v[66:67], v[98:99], s[16:17], v[54:55]
	v_add_f64 v[74:75], v[74:75], v[52:53]
	v_fma_f64 v[96:97], v[96:97], -0.5, v[76:77]
	v_add_f64 v[82:83], v[82:83], -v[50:51]
	v_fma_f64 v[98:99], v[86:87], s[14:15], v[100:101]
	v_add_f64 v[100:101], v[102:103], v[104:105]
	v_fma_f64 v[50:51], v[56:57], s[8:9], v[62:63]
	v_fma_f64 v[54:55], v[56:57], s[8:9], v[64:65]
	v_fma_f64 v[56:57], v[86:87], s[12:13], v[66:67]
	v_add_f64 v[66:67], v[84:85], v[68:69]
	v_add_f64 v[64:65], v[74:75], v[60:61]
	v_fma_f64 v[74:75], v[82:83], s[6:7], v[96:97]
	v_add_f64 v[86:87], v[44:45], -v[58:59]
	v_fma_f64 v[58:59], v[100:101], s[8:9], v[98:99]
	v_add_f64 v[98:99], v[90:91], v[70:71]
	v_add_f64 v[102:103], v[84:85], -v[52:53]
	v_fma_f64 v[62:63], v[100:101], s[8:9], v[56:57]
	v_fma_f64 v[56:57], v[66:67], -0.5, v[76:77]
	v_add_f64 v[104:105], v[68:69], -v[60:61]
	v_add_f64 v[44:45], v[64:65], v[68:69]
	v_fma_f64 v[64:65], v[86:87], s[12:13], v[74:75]
	v_add_f64 v[66:67], v[46:47], v[88:89]
	v_fma_f64 v[74:75], v[98:99], -0.5, v[46:47]
	v_add_f64 v[76:77], v[92:93], -v[80:81]
	v_add_f64 v[52:53], v[52:53], -v[84:85]
	v_fma_f64 v[100:101], v[86:87], s[16:17], v[56:57]
	v_add_f64 v[60:61], v[60:61], -v[68:69]
	v_fma_f64 v[56:57], v[86:87], s[6:7], v[56:57]
	v_fma_f64 v[96:97], v[82:83], s[16:17], v[96:97]
	v_add_f64 v[98:99], v[102:103], v[104:105]
	v_add_f64 v[66:67], v[66:67], v[90:91]
	v_fma_f64 v[68:69], v[76:77], s[16:17], v[74:75]
	v_add_f64 v[84:85], v[94:95], -v[72:73]
	v_add_f64 v[102:103], v[88:89], -v[90:91]
	v_add_f64 v[104:105], v[78:79], -v[70:71]
	v_fma_f64 v[100:101], v[82:83], s[12:13], v[100:101]
	v_add_f64 v[106:107], v[52:53], v[60:61]
	v_fma_f64 v[82:83], v[82:83], s[14:15], v[56:57]
	v_fma_f64 v[86:87], v[86:87], s[14:15], v[96:97]
	v_add_f64 v[96:97], v[88:89], v[78:79]
	v_add_f64 v[66:67], v[66:67], v[70:71]
	v_fma_f64 v[68:69], v[84:85], s[14:15], v[68:69]
	v_add_f64 v[102:103], v[102:103], v[104:105]
	v_fma_f64 v[52:53], v[98:99], s[8:9], v[64:65]
	;; [unrolled: 2-line block ×4, first 2 shown]
	v_add_f64 v[98:99], v[92:93], v[80:81]
	v_fma_f64 v[96:97], v[96:97], -0.5, v[46:47]
	v_fma_f64 v[60:61], v[106:107], s[8:9], v[100:101]
	v_add_f64 v[46:47], v[66:67], v[78:79]
	v_fma_f64 v[66:67], v[102:103], s[8:9], v[68:69]
	v_fma_f64 v[68:69], v[76:77], s[6:7], v[74:75]
	v_add_f64 v[100:101], v[70:71], -v[78:79]
	v_fma_f64 v[82:83], v[82:83], -0.5, v[48:49]
	v_add_f64 v[78:79], v[88:89], -v[78:79]
	v_add_f64 v[86:87], v[90:91], -v[88:89]
	v_add_f64 v[70:71], v[90:91], -v[70:71]
	v_fma_f64 v[48:49], v[98:99], -0.5, v[48:49]
	v_add_f64 v[88:89], v[104:105], v[94:95]
	v_fma_f64 v[74:75], v[84:85], s[6:7], v[96:97]
	v_fma_f64 v[68:69], v[84:85], s[12:13], v[68:69]
	;; [unrolled: 1-line block ×4, first 2 shown]
	v_add_f64 v[96:97], v[92:93], -v[94:95]
	v_add_f64 v[98:99], v[80:81], -v[72:73]
	v_add_f64 v[86:87], v[86:87], v[100:101]
	v_fma_f64 v[100:101], v[70:71], s[16:17], v[48:49]
	v_add_f64 v[92:93], v[94:95], -v[92:93]
	v_add_f64 v[94:95], v[72:73], -v[80:81]
	v_fma_f64 v[82:83], v[78:79], s[16:17], v[82:83]
	v_fma_f64 v[48:49], v[70:71], s[6:7], v[48:49]
	v_add_f64 v[72:73], v[88:89], v[72:73]
	v_fma_f64 v[74:75], v[76:77], s[14:15], v[74:75]
	v_fma_f64 v[76:77], v[76:77], s[12:13], v[84:85]
	;; [unrolled: 1-line block ×3, first 2 shown]
	v_add_f64 v[88:89], v[96:97], v[98:99]
	v_fma_f64 v[90:91], v[78:79], s[12:13], v[100:101]
	v_add_f64 v[92:93], v[92:93], v[94:95]
	v_fma_f64 v[82:83], v[70:71], s[14:15], v[82:83]
	v_fma_f64 v[94:95], v[78:79], s[14:15], v[48:49]
	v_add_f64 v[48:49], v[72:73], v[80:81]
	v_fma_f64 v[70:71], v[102:103], s[8:9], v[68:69]
	v_fma_f64 v[74:75], v[86:87], s[8:9], v[74:75]
	;; [unrolled: 1-line block ×7, first 2 shown]
	ds_write_b128 v141, v[42:45]
	ds_write_b128 v141, v[50:53] offset:8000
	ds_write_b128 v141, v[58:61] offset:16000
	;; [unrolled: 1-line block ×9, first 2 shown]
	s_waitcnt lgkmcnt(0)
	s_barrier
	ds_read_b128 v[42:45], v141
	ds_read_b128 v[46:49], v141 offset:36000
	v_mov_b32_e32 v58, s5
	s_waitcnt lgkmcnt(1)
	v_mul_f64 v[50:51], v[6:7], v[44:45]
	v_mul_f64 v[6:7], v[6:7], v[42:43]
	v_mad_u64_u32 v[52:53], s[2:3], s3, v140, v[41:42]
	v_mad_u64_u32 v[54:55], s[2:3], s0, v142, 0
	v_mov_b32_e32 v41, v52
	s_mov_b32 s2, 0xeb1c432d
	v_fma_f64 v[42:43], v[4:5], v[42:43], v[50:51]
	v_fma_f64 v[44:45], v[4:5], v[44:45], -v[6:7]
	v_mov_b32_e32 v4, v55
	v_mad_u64_u32 v[50:51], s[6:7], s1, v142, v[4:5]
	ds_read_b128 v[4:7], v141 offset:4000
	s_mov_b32 s3, 0x3f3a36e2
	v_mov_b32_e32 v55, v50
	ds_read_b128 v[50:53], v141 offset:8000
	v_mul_f64 v[42:43], v[42:43], s[2:3]
	s_waitcnt lgkmcnt(1)
	v_mul_f64 v[56:57], v[2:3], v[6:7]
	v_mul_f64 v[2:3], v[2:3], v[4:5]
	;; [unrolled: 1-line block ×3, first 2 shown]
	v_lshlrev_b64 v[40:41], 4, v[40:41]
	s_mulk_i32 s1, 0xfa0
	v_add_co_u32_e32 v40, vcc, s4, v40
	v_addc_co_u32_e32 v41, vcc, v58, v41, vcc
	v_fma_f64 v[4:5], v[0:1], v[4:5], v[56:57]
	v_fma_f64 v[2:3], v[0:1], v[6:7], -v[2:3]
	v_lshlrev_b64 v[0:1], 4, v[54:55]
	s_mul_hi_u32 s4, s0, 0xfa0
	v_add_co_u32_e32 v40, vcc, v40, v0
	v_addc_co_u32_e32 v41, vcc, v41, v1, vcc
	global_store_dwordx4 v[40:41], v[42:45], off
	v_mul_f64 v[0:1], v[4:5], s[2:3]
	s_waitcnt lgkmcnt(0)
	v_mul_f64 v[42:43], v[10:11], v[52:53]
	v_mul_f64 v[10:11], v[10:11], v[50:51]
	ds_read_b128 v[4:7], v141 offset:12000
	v_mul_f64 v[2:3], v[2:3], s[2:3]
	s_add_i32 s1, s4, s1
	s_mulk_i32 s0, 0xfa0
	v_mov_b32_e32 v54, s1
	v_add_co_u32_e32 v40, vcc, s0, v40
	v_fma_f64 v[42:43], v[8:9], v[50:51], v[42:43]
	v_fma_f64 v[44:45], v[8:9], v[52:53], -v[10:11]
	ds_read_b128 v[8:11], v141 offset:16000
	s_waitcnt lgkmcnt(1)
	v_mul_f64 v[50:51], v[14:15], v[6:7]
	v_mul_f64 v[14:15], v[14:15], v[4:5]
	v_addc_co_u32_e32 v41, vcc, v41, v54, vcc
	global_store_dwordx4 v[40:41], v[0:3], off
	v_fma_f64 v[4:5], v[12:13], v[4:5], v[50:51]
	v_mul_f64 v[0:1], v[42:43], s[2:3]
	v_mul_f64 v[2:3], v[44:45], s[2:3]
	v_fma_f64 v[6:7], v[12:13], v[6:7], -v[14:15]
	s_waitcnt lgkmcnt(0)
	v_mul_f64 v[12:13], v[18:19], v[10:11]
	v_mul_f64 v[14:15], v[18:19], v[8:9]
	v_mov_b32_e32 v42, s1
	v_add_co_u32_e32 v18, vcc, s0, v40
	v_addc_co_u32_e32 v19, vcc, v41, v42, vcc
	global_store_dwordx4 v[18:19], v[0:3], off
	v_fma_f64 v[12:13], v[16:17], v[8:9], v[12:13]
	v_mul_f64 v[0:1], v[4:5], s[2:3]
	v_mul_f64 v[2:3], v[6:7], s[2:3]
	ds_read_b128 v[4:7], v141 offset:20000
	v_fma_f64 v[14:15], v[16:17], v[10:11], -v[14:15]
	ds_read_b128 v[8:11], v141 offset:24000
	v_mov_b32_e32 v40, s1
	v_add_co_u32_e32 v18, vcc, s0, v18
	s_waitcnt lgkmcnt(1)
	v_mul_f64 v[16:17], v[22:23], v[6:7]
	v_mul_f64 v[22:23], v[22:23], v[4:5]
	v_addc_co_u32_e32 v19, vcc, v19, v40, vcc
	global_store_dwordx4 v[18:19], v[0:3], off
	v_fma_f64 v[4:5], v[20:21], v[4:5], v[16:17]
	v_mul_f64 v[0:1], v[12:13], s[2:3]
	v_mul_f64 v[2:3], v[14:15], s[2:3]
	v_fma_f64 v[6:7], v[20:21], v[6:7], -v[22:23]
	s_waitcnt lgkmcnt(0)
	v_mul_f64 v[12:13], v[26:27], v[10:11]
	v_mul_f64 v[14:15], v[26:27], v[8:9]
	v_add_co_u32_e32 v16, vcc, s0, v18
	v_addc_co_u32_e32 v17, vcc, v19, v40, vcc
	global_store_dwordx4 v[16:17], v[0:3], off
	v_mov_b32_e32 v22, s1
	v_mul_f64 v[0:1], v[4:5], s[2:3]
	v_mul_f64 v[2:3], v[6:7], s[2:3]
	ds_read_b128 v[4:7], v141 offset:28000
	v_fma_f64 v[12:13], v[24:25], v[8:9], v[12:13]
	v_fma_f64 v[14:15], v[24:25], v[10:11], -v[14:15]
	ds_read_b128 v[8:11], v141 offset:32000
	v_add_co_u32_e32 v16, vcc, s0, v16
	s_waitcnt lgkmcnt(1)
	v_mul_f64 v[18:19], v[30:31], v[6:7]
	v_mul_f64 v[20:21], v[30:31], v[4:5]
	v_addc_co_u32_e32 v17, vcc, v17, v22, vcc
	global_store_dwordx4 v[16:17], v[0:3], off
	v_fma_f64 v[4:5], v[28:29], v[4:5], v[18:19]
	v_mul_f64 v[0:1], v[12:13], s[2:3]
	v_mov_b32_e32 v13, s1
	v_add_co_u32_e32 v12, vcc, s0, v16
	v_mul_f64 v[2:3], v[14:15], s[2:3]
	v_fma_f64 v[6:7], v[28:29], v[6:7], -v[20:21]
	v_addc_co_u32_e32 v13, vcc, v17, v13, vcc
	s_waitcnt lgkmcnt(0)
	v_mul_f64 v[14:15], v[34:35], v[10:11]
	v_mul_f64 v[16:17], v[34:35], v[8:9]
	;; [unrolled: 1-line block ×4, first 2 shown]
	global_store_dwordx4 v[12:13], v[0:3], off
	v_add_co_u32_e32 v12, vcc, s0, v12
	v_mul_f64 v[0:1], v[4:5], s[2:3]
	v_mul_f64 v[2:3], v[6:7], s[2:3]
	v_fma_f64 v[4:5], v[32:33], v[8:9], v[14:15]
	v_fma_f64 v[6:7], v[32:33], v[10:11], -v[16:17]
	v_fma_f64 v[8:9], v[36:37], v[46:47], v[18:19]
	v_fma_f64 v[10:11], v[36:37], v[48:49], -v[20:21]
	v_addc_co_u32_e32 v13, vcc, v13, v22, vcc
	v_mov_b32_e32 v14, s1
	global_store_dwordx4 v[12:13], v[0:3], off
	s_nop 0
	v_mul_f64 v[0:1], v[4:5], s[2:3]
	v_mul_f64 v[2:3], v[6:7], s[2:3]
	;; [unrolled: 1-line block ×4, first 2 shown]
	v_add_co_u32_e32 v8, vcc, s0, v12
	v_addc_co_u32_e32 v9, vcc, v13, v14, vcc
	global_store_dwordx4 v[8:9], v[0:3], off
	s_nop 0
	v_mov_b32_e32 v1, s1
	v_add_co_u32_e32 v0, vcc, s0, v8
	v_addc_co_u32_e32 v1, vcc, v9, v1, vcc
	global_store_dwordx4 v[0:1], v[4:7], off
.LBB0_2:
	s_endpgm
	.section	.rodata,"a",@progbits
	.p2align	6, 0x0
	.amdhsa_kernel bluestein_single_fwd_len2500_dim1_dp_op_CI_CI
		.amdhsa_group_segment_fixed_size 40000
		.amdhsa_private_segment_fixed_size 0
		.amdhsa_kernarg_size 104
		.amdhsa_user_sgpr_count 6
		.amdhsa_user_sgpr_private_segment_buffer 1
		.amdhsa_user_sgpr_dispatch_ptr 0
		.amdhsa_user_sgpr_queue_ptr 0
		.amdhsa_user_sgpr_kernarg_segment_ptr 1
		.amdhsa_user_sgpr_dispatch_id 0
		.amdhsa_user_sgpr_flat_scratch_init 0
		.amdhsa_user_sgpr_private_segment_size 0
		.amdhsa_uses_dynamic_stack 0
		.amdhsa_system_sgpr_private_segment_wavefront_offset 0
		.amdhsa_system_sgpr_workgroup_id_x 1
		.amdhsa_system_sgpr_workgroup_id_y 0
		.amdhsa_system_sgpr_workgroup_id_z 0
		.amdhsa_system_sgpr_workgroup_info 0
		.amdhsa_system_vgpr_workitem_id 0
		.amdhsa_next_free_vgpr 217
		.amdhsa_next_free_sgpr 28
		.amdhsa_reserve_vcc 1
		.amdhsa_reserve_flat_scratch 0
		.amdhsa_float_round_mode_32 0
		.amdhsa_float_round_mode_16_64 0
		.amdhsa_float_denorm_mode_32 3
		.amdhsa_float_denorm_mode_16_64 3
		.amdhsa_dx10_clamp 1
		.amdhsa_ieee_mode 1
		.amdhsa_fp16_overflow 0
		.amdhsa_exception_fp_ieee_invalid_op 0
		.amdhsa_exception_fp_denorm_src 0
		.amdhsa_exception_fp_ieee_div_zero 0
		.amdhsa_exception_fp_ieee_overflow 0
		.amdhsa_exception_fp_ieee_underflow 0
		.amdhsa_exception_fp_ieee_inexact 0
		.amdhsa_exception_int_div_zero 0
	.end_amdhsa_kernel
	.text
.Lfunc_end0:
	.size	bluestein_single_fwd_len2500_dim1_dp_op_CI_CI, .Lfunc_end0-bluestein_single_fwd_len2500_dim1_dp_op_CI_CI
                                        ; -- End function
	.section	.AMDGPU.csdata,"",@progbits
; Kernel info:
; codeLenInByte = 14716
; NumSgprs: 32
; NumVgprs: 217
; ScratchSize: 0
; MemoryBound: 0
; FloatMode: 240
; IeeeMode: 1
; LDSByteSize: 40000 bytes/workgroup (compile time only)
; SGPRBlocks: 3
; VGPRBlocks: 54
; NumSGPRsForWavesPerEU: 32
; NumVGPRsForWavesPerEU: 217
; Occupancy: 1
; WaveLimiterHint : 1
; COMPUTE_PGM_RSRC2:SCRATCH_EN: 0
; COMPUTE_PGM_RSRC2:USER_SGPR: 6
; COMPUTE_PGM_RSRC2:TRAP_HANDLER: 0
; COMPUTE_PGM_RSRC2:TGID_X_EN: 1
; COMPUTE_PGM_RSRC2:TGID_Y_EN: 0
; COMPUTE_PGM_RSRC2:TGID_Z_EN: 0
; COMPUTE_PGM_RSRC2:TIDIG_COMP_CNT: 0
	.type	__hip_cuid_6c1d9ae07f6bb335,@object ; @__hip_cuid_6c1d9ae07f6bb335
	.section	.bss,"aw",@nobits
	.globl	__hip_cuid_6c1d9ae07f6bb335
__hip_cuid_6c1d9ae07f6bb335:
	.byte	0                               ; 0x0
	.size	__hip_cuid_6c1d9ae07f6bb335, 1

	.ident	"AMD clang version 19.0.0git (https://github.com/RadeonOpenCompute/llvm-project roc-6.4.0 25133 c7fe45cf4b819c5991fe208aaa96edf142730f1d)"
	.section	".note.GNU-stack","",@progbits
	.addrsig
	.addrsig_sym __hip_cuid_6c1d9ae07f6bb335
	.amdgpu_metadata
---
amdhsa.kernels:
  - .args:
      - .actual_access:  read_only
        .address_space:  global
        .offset:         0
        .size:           8
        .value_kind:     global_buffer
      - .actual_access:  read_only
        .address_space:  global
        .offset:         8
        .size:           8
        .value_kind:     global_buffer
      - .actual_access:  read_only
        .address_space:  global
        .offset:         16
        .size:           8
        .value_kind:     global_buffer
      - .actual_access:  read_only
        .address_space:  global
        .offset:         24
        .size:           8
        .value_kind:     global_buffer
      - .actual_access:  read_only
        .address_space:  global
        .offset:         32
        .size:           8
        .value_kind:     global_buffer
      - .offset:         40
        .size:           8
        .value_kind:     by_value
      - .address_space:  global
        .offset:         48
        .size:           8
        .value_kind:     global_buffer
      - .address_space:  global
        .offset:         56
        .size:           8
        .value_kind:     global_buffer
      - .address_space:  global
        .offset:         64
        .size:           8
        .value_kind:     global_buffer
      - .address_space:  global
        .offset:         72
        .size:           8
        .value_kind:     global_buffer
      - .offset:         80
        .size:           4
        .value_kind:     by_value
      - .address_space:  global
        .offset:         88
        .size:           8
        .value_kind:     global_buffer
      - .address_space:  global
        .offset:         96
        .size:           8
        .value_kind:     global_buffer
    .group_segment_fixed_size: 40000
    .kernarg_segment_align: 8
    .kernarg_segment_size: 104
    .language:       OpenCL C
    .language_version:
      - 2
      - 0
    .max_flat_workgroup_size: 250
    .name:           bluestein_single_fwd_len2500_dim1_dp_op_CI_CI
    .private_segment_fixed_size: 0
    .sgpr_count:     32
    .sgpr_spill_count: 0
    .symbol:         bluestein_single_fwd_len2500_dim1_dp_op_CI_CI.kd
    .uniform_work_group_size: 1
    .uses_dynamic_stack: false
    .vgpr_count:     217
    .vgpr_spill_count: 0
    .wavefront_size: 64
amdhsa.target:   amdgcn-amd-amdhsa--gfx906
amdhsa.version:
  - 1
  - 2
...

	.end_amdgpu_metadata
